;; amdgpu-corpus repo=FlagOpen/FlagGems kind=triton arch=gfx942 opt=O3 lang=triton
	.amdgcn_target "amdgcn-amd-amdhsa--gfx942"
	.amdhsa_code_object_version 5
	.text
	.globl	_attn_fwd                       ; -- Begin function _attn_fwd
	.p2align	8
	.type	_attn_fwd,@function
_attn_fwd:                              ; @_attn_fwd
.Lfunc_begin0:
	.cfi_sections .debug_frame
	.cfi_startproc
; %bb.143:
	.file	1 "/root/src/amdgpu-assembly/repos/FlagOpen__FlagGems/triton_aot_kernels" "attention_aot.py"
	.loc	1 117 0 prologue_end            ; attention_aot.py:117:0
	s_load_dwordx2 s[2:3], s[0:1], 0x0
	s_load_dwordx8 s[4:11], s[0:1], 0x8
	s_load_dwordx4 s[12:15], s[0:1], 0x28
	s_waitcnt lgkmcnt(0)
	s_branch .LBB0_0
	.loc	1 0 0 is_stmt 0                 ; :0:0
.Ltmp0:
	.p2align	8
; %bb.144:
.LBB0_0:
	s_load_dword s9, s[0:1], 0x8c
.Ltmp1:
	.loc	1 161 25 is_stmt 1              ; attention_aot.py:161:25
	s_abs_i32 s19, s17
	s_load_dword s87, s[0:1], 0x94
	s_load_dwordx4 s[20:23], s[0:1], 0x38
	.loc	1 293 21                        ; attention_aot.py:293:21
	v_readfirstlane_b32 s8, v0
	.loc	1 161 25                        ; attention_aot.py:161:25
	s_waitcnt lgkmcnt(0)
	s_abs_i32 s11, s9
	v_cvt_f32_u32_e32 v1, s11
	s_sub_i32 s24, 0, s11
	s_xor_b32 s18, s17, s9
	s_ashr_i32 s18, s18, 31
	v_rcp_iflag_f32_e32 v1, v1
	s_nop 0
	v_mul_f32_e32 v1, 0x4f7ffffe, v1
	v_cvt_u32_f32_e32 v1, v1
	s_nop 0
	v_readfirstlane_b32 s25, v1
	s_mul_i32 s24, s24, s25
	s_mul_hi_u32 s24, s25, s24
	s_add_i32 s25, s25, s24
	s_mul_hi_u32 s24, s19, s25
	s_mul_i32 s25, s24, s11
	s_sub_i32 s19, s19, s25
	s_add_i32 s25, s24, 1
	s_sub_i32 s26, s19, s11
	s_cmp_ge_u32 s19, s11
	s_cselect_b32 s24, s25, s24
	s_cselect_b32 s19, s26, s19
	s_add_i32 s25, s24, 1
	s_cmp_ge_u32 s19, s11
	s_cselect_b32 s11, s25, s24
	s_xor_b32 s11, s11, s18
	s_sub_i32 s86, s11, s18
	.loc	1 162 23                        ; attention_aot.py:162:23
	s_mul_i32 s9, s86, s9
	s_sub_i32 s33, s17, s9
	s_movk_i32 s9, 0xffc0
	.loc	1 175 33                        ; attention_aot.py:175:33
	v_mov_b32_e32 v1, s8
	.loc	1 166 32                        ; attention_aot.py:166:32
	s_mul_hi_i32 s19, s86, s20
	s_mul_i32 s18, s86, s20
	.loc	1 175 33                        ; attention_aot.py:175:33
	v_bfi_b32 v1, s9, v1, v0
	s_bfe_u32 s9, s8, 0x20007
	.loc	1 178 23                        ; attention_aot.py:178:23
	s_lshl_b32 s16, s16, 7
	.loc	1 178 33 is_stmt 0              ; attention_aot.py:178:33
	s_or_b32 s9, s9, s16
	.loc	1 184 10 is_stmt 1              ; attention_aot.py:184:10
	s_lshl_b64 s[18:19], s[18:19], 1
	.loc	1 166 72                        ; attention_aot.py:166:72
	s_mul_hi_i32 s25, s33, s21
	s_mul_i32 s24, s33, s21
	.loc	1 184 10                        ; attention_aot.py:184:10
	s_add_u32 s11, s2, s18
	s_addc_u32 s18, s3, s19
	s_lshl_b64 s[2:3], s[24:25], 1
	.loc	1 175 33                        ; attention_aot.py:175:33
	v_and_b32_e32 v43, 0x7f, v1
	.loc	1 184 10                        ; attention_aot.py:184:10
	s_add_u32 s2, s11, s2
	s_addc_u32 s3, s18, s3
	.loc	1 186 35                        ; attention_aot.py:186:35
	v_mul_lo_u32 v2, v43, s23
	.loc	1 179 27                        ; attention_aot.py:179:27
	s_cmp_ge_i32 s9, s87
	.loc	1 186 10                        ; attention_aot.py:186:10
	v_ashrrev_i32_e32 v3, 31, v2
	.loc	1 230 20                        ; attention_aot.py:230:20
	s_cbranch_scc1 .LBB0_32
; %bb.1:
	.loc	1 0 20 is_stmt 0                ; attention_aot.py:0:20
	s_mul_i32 s18, s9, s22
	s_ashr_i32 s19, s18, 31
	s_lshl_b64 s[18:19], s[18:19], 1
	s_add_u32 s18, s2, s18
	s_addc_u32 s19, s3, s19
	v_lshl_add_u64 v[4:5], v[2:3], 1, s[18:19]
	.loc	1 230 20                        ; attention_aot.py:230:20
	global_load_ushort v4, v[4:5], off
	.loc	1 178 33 is_stmt 1              ; attention_aot.py:178:33
	s_or_b32 s11, s9, 4
	.loc	1 179 27                        ; attention_aot.py:179:27
	s_cmp_ge_i32 s11, s87
	.loc	1 230 20                        ; attention_aot.py:230:20
	s_cbranch_scc0 .LBB0_33
.LBB0_2:
	.loc	1 0 20 is_stmt 0                ; attention_aot.py:0:20
	v_mov_b32_e32 v5, 0
	.loc	1 178 33 is_stmt 1              ; attention_aot.py:178:33
	s_or_b32 s11, s9, 8
	.loc	1 179 27                        ; attention_aot.py:179:27
	s_cmp_ge_i32 s11, s87
	.loc	1 230 20                        ; attention_aot.py:230:20
	s_cbranch_scc0 .LBB0_34
.LBB0_3:
	.loc	1 0 20 is_stmt 0                ; attention_aot.py:0:20
	v_mov_b32_e32 v6, 0
	.loc	1 178 33 is_stmt 1              ; attention_aot.py:178:33
	s_or_b32 s11, s9, 12
	.loc	1 179 27                        ; attention_aot.py:179:27
	s_cmp_ge_i32 s11, s87
	.loc	1 230 20                        ; attention_aot.py:230:20
	s_cbranch_scc0 .LBB0_35
.LBB0_4:
	.loc	1 0 20 is_stmt 0                ; attention_aot.py:0:20
	v_mov_b32_e32 v7, 0
	.loc	1 178 33 is_stmt 1              ; attention_aot.py:178:33
	s_or_b32 s11, s9, 16
	.loc	1 179 27                        ; attention_aot.py:179:27
	s_cmp_ge_i32 s11, s87
	.loc	1 230 20                        ; attention_aot.py:230:20
	s_cbranch_scc0 .LBB0_36
.LBB0_5:
	.loc	1 0 20 is_stmt 0                ; attention_aot.py:0:20
	v_mov_b32_e32 v8, 0
	.loc	1 178 33 is_stmt 1              ; attention_aot.py:178:33
	s_or_b32 s11, s9, 20
	.loc	1 179 27                        ; attention_aot.py:179:27
	s_cmp_ge_i32 s11, s87
	.loc	1 230 20                        ; attention_aot.py:230:20
	s_cbranch_scc0 .LBB0_37
.LBB0_6:
	.loc	1 0 20 is_stmt 0                ; attention_aot.py:0:20
	v_mov_b32_e32 v9, 0
	.loc	1 178 33 is_stmt 1              ; attention_aot.py:178:33
	s_or_b32 s11, s9, 24
	.loc	1 179 27                        ; attention_aot.py:179:27
	s_cmp_ge_i32 s11, s87
	.loc	1 230 20                        ; attention_aot.py:230:20
	s_cbranch_scc0 .LBB0_38
.LBB0_7:
	.loc	1 0 20 is_stmt 0                ; attention_aot.py:0:20
	v_mov_b32_e32 v10, 0
	.loc	1 178 33 is_stmt 1              ; attention_aot.py:178:33
	s_or_b32 s11, s9, 28
	.loc	1 179 27                        ; attention_aot.py:179:27
	s_cmp_ge_i32 s11, s87
	.loc	1 230 20                        ; attention_aot.py:230:20
	s_cbranch_scc0 .LBB0_39
.LBB0_8:
	.loc	1 0 20 is_stmt 0                ; attention_aot.py:0:20
	v_mov_b32_e32 v11, 0
	.loc	1 178 33 is_stmt 1              ; attention_aot.py:178:33
	s_or_b32 s11, s9, 32
	.loc	1 179 27                        ; attention_aot.py:179:27
	s_cmp_ge_i32 s11, s87
	.loc	1 230 20                        ; attention_aot.py:230:20
	s_cbranch_scc0 .LBB0_40
.LBB0_9:
	.loc	1 0 20 is_stmt 0                ; attention_aot.py:0:20
	v_mov_b32_e32 v12, 0
	.loc	1 178 33 is_stmt 1              ; attention_aot.py:178:33
	s_or_b32 s11, s9, 36
	.loc	1 179 27                        ; attention_aot.py:179:27
	s_cmp_ge_i32 s11, s87
	.loc	1 230 20                        ; attention_aot.py:230:20
	s_cbranch_scc0 .LBB0_41
.LBB0_10:
	.loc	1 0 20 is_stmt 0                ; attention_aot.py:0:20
	v_mov_b32_e32 v13, 0
	.loc	1 178 33 is_stmt 1              ; attention_aot.py:178:33
	s_or_b32 s11, s9, 40
	.loc	1 179 27                        ; attention_aot.py:179:27
	s_cmp_ge_i32 s11, s87
	.loc	1 230 20                        ; attention_aot.py:230:20
	s_cbranch_scc0 .LBB0_42
.LBB0_11:
	.loc	1 0 20 is_stmt 0                ; attention_aot.py:0:20
	v_mov_b32_e32 v14, 0
	.loc	1 178 33 is_stmt 1              ; attention_aot.py:178:33
	s_or_b32 s11, s9, 44
	.loc	1 179 27                        ; attention_aot.py:179:27
	s_cmp_ge_i32 s11, s87
	.loc	1 230 20                        ; attention_aot.py:230:20
	s_cbranch_scc0 .LBB0_43
.LBB0_12:
	.loc	1 0 20 is_stmt 0                ; attention_aot.py:0:20
	v_mov_b32_e32 v15, 0
	.loc	1 178 33 is_stmt 1              ; attention_aot.py:178:33
	s_or_b32 s11, s9, 48
	.loc	1 179 27                        ; attention_aot.py:179:27
	s_cmp_ge_i32 s11, s87
	.loc	1 230 20                        ; attention_aot.py:230:20
	s_cbranch_scc0 .LBB0_44
.LBB0_13:
	.loc	1 0 20 is_stmt 0                ; attention_aot.py:0:20
	v_mov_b32_e32 v16, 0
	.loc	1 178 33 is_stmt 1              ; attention_aot.py:178:33
	s_or_b32 s11, s9, 52
	.loc	1 179 27                        ; attention_aot.py:179:27
	s_cmp_ge_i32 s11, s87
	.loc	1 230 20                        ; attention_aot.py:230:20
	s_cbranch_scc0 .LBB0_45
.LBB0_14:
	.loc	1 0 20 is_stmt 0                ; attention_aot.py:0:20
	v_mov_b32_e32 v17, 0
	.loc	1 178 33 is_stmt 1              ; attention_aot.py:178:33
	s_or_b32 s11, s9, 56
	.loc	1 179 27                        ; attention_aot.py:179:27
	s_cmp_ge_i32 s11, s87
	.loc	1 230 20                        ; attention_aot.py:230:20
	s_cbranch_scc0 .LBB0_46
.LBB0_15:
	.loc	1 0 20 is_stmt 0                ; attention_aot.py:0:20
	v_mov_b32_e32 v18, 0
	.loc	1 178 33 is_stmt 1              ; attention_aot.py:178:33
	s_or_b32 s11, s9, 60
	.loc	1 179 27                        ; attention_aot.py:179:27
	s_cmp_ge_i32 s11, s87
	.loc	1 230 20                        ; attention_aot.py:230:20
	s_cbranch_scc0 .LBB0_47
.LBB0_16:
	.loc	1 0 20 is_stmt 0                ; attention_aot.py:0:20
	v_mov_b32_e32 v19, 0
	.loc	1 178 33 is_stmt 1              ; attention_aot.py:178:33
	s_or_b32 s11, s9, 64
	.loc	1 179 27                        ; attention_aot.py:179:27
	s_cmp_ge_i32 s11, s87
	.loc	1 230 20                        ; attention_aot.py:230:20
	s_cbranch_scc0 .LBB0_48
.LBB0_17:
	.loc	1 0 20 is_stmt 0                ; attention_aot.py:0:20
	v_mov_b32_e32 v20, 0
	.loc	1 178 33 is_stmt 1              ; attention_aot.py:178:33
	s_or_b32 s11, s9, 0x44
	.loc	1 179 27                        ; attention_aot.py:179:27
	s_cmp_ge_i32 s11, s87
	.loc	1 230 20                        ; attention_aot.py:230:20
	s_cbranch_scc0 .LBB0_49
.LBB0_18:
	.loc	1 0 20 is_stmt 0                ; attention_aot.py:0:20
	v_mov_b32_e32 v21, 0
	.loc	1 178 33 is_stmt 1              ; attention_aot.py:178:33
	s_or_b32 s11, s9, 0x48
	.loc	1 179 27                        ; attention_aot.py:179:27
	s_cmp_ge_i32 s11, s87
	.loc	1 230 20                        ; attention_aot.py:230:20
	s_cbranch_scc0 .LBB0_50
.LBB0_19:
	.loc	1 0 20 is_stmt 0                ; attention_aot.py:0:20
	v_mov_b32_e32 v22, 0
	.loc	1 178 33 is_stmt 1              ; attention_aot.py:178:33
	s_or_b32 s11, s9, 0x4c
	.loc	1 179 27                        ; attention_aot.py:179:27
	s_cmp_ge_i32 s11, s87
	.loc	1 230 20                        ; attention_aot.py:230:20
	s_cbranch_scc0 .LBB0_51
.LBB0_20:
	.loc	1 0 20 is_stmt 0                ; attention_aot.py:0:20
	v_mov_b32_e32 v23, 0
	.loc	1 178 33 is_stmt 1              ; attention_aot.py:178:33
	s_or_b32 s11, s9, 0x50
	.loc	1 179 27                        ; attention_aot.py:179:27
	s_cmp_ge_i32 s11, s87
	.loc	1 230 20                        ; attention_aot.py:230:20
	s_cbranch_scc0 .LBB0_52
.LBB0_21:
	.loc	1 0 20 is_stmt 0                ; attention_aot.py:0:20
	v_mov_b32_e32 v24, 0
	.loc	1 178 33 is_stmt 1              ; attention_aot.py:178:33
	s_or_b32 s11, s9, 0x54
	.loc	1 179 27                        ; attention_aot.py:179:27
	s_cmp_ge_i32 s11, s87
	.loc	1 230 20                        ; attention_aot.py:230:20
	s_cbranch_scc0 .LBB0_53
.LBB0_22:
	.loc	1 0 20 is_stmt 0                ; attention_aot.py:0:20
	v_mov_b32_e32 v25, 0
	.loc	1 178 33 is_stmt 1              ; attention_aot.py:178:33
	s_or_b32 s11, s9, 0x58
	.loc	1 179 27                        ; attention_aot.py:179:27
	s_cmp_ge_i32 s11, s87
	.loc	1 230 20                        ; attention_aot.py:230:20
	s_cbranch_scc0 .LBB0_54
.LBB0_23:
	.loc	1 0 20 is_stmt 0                ; attention_aot.py:0:20
	v_mov_b32_e32 v26, 0
	.loc	1 178 33 is_stmt 1              ; attention_aot.py:178:33
	s_or_b32 s11, s9, 0x5c
	.loc	1 179 27                        ; attention_aot.py:179:27
	s_cmp_ge_i32 s11, s87
	.loc	1 230 20                        ; attention_aot.py:230:20
	s_cbranch_scc0 .LBB0_55
.LBB0_24:
	.loc	1 0 20 is_stmt 0                ; attention_aot.py:0:20
	v_mov_b32_e32 v27, 0
	.loc	1 178 33 is_stmt 1              ; attention_aot.py:178:33
	s_or_b32 s11, s9, 0x60
	.loc	1 179 27                        ; attention_aot.py:179:27
	s_cmp_ge_i32 s11, s87
	.loc	1 230 20                        ; attention_aot.py:230:20
	s_cbranch_scc0 .LBB0_56
.LBB0_25:
	.loc	1 0 20 is_stmt 0                ; attention_aot.py:0:20
	v_mov_b32_e32 v28, 0
	.loc	1 178 33 is_stmt 1              ; attention_aot.py:178:33
	s_or_b32 s11, s9, 0x64
	.loc	1 179 27                        ; attention_aot.py:179:27
	s_cmp_ge_i32 s11, s87
	.loc	1 230 20                        ; attention_aot.py:230:20
	s_cbranch_scc0 .LBB0_57
.LBB0_26:
	.loc	1 0 20 is_stmt 0                ; attention_aot.py:0:20
	v_mov_b32_e32 v29, 0
	.loc	1 178 33 is_stmt 1              ; attention_aot.py:178:33
	s_or_b32 s11, s9, 0x68
	.loc	1 179 27                        ; attention_aot.py:179:27
	s_cmp_ge_i32 s11, s87
	.loc	1 230 20                        ; attention_aot.py:230:20
	s_cbranch_scc0 .LBB0_58
.LBB0_27:
	.loc	1 0 20 is_stmt 0                ; attention_aot.py:0:20
	v_mov_b32_e32 v30, 0
	.loc	1 178 33 is_stmt 1              ; attention_aot.py:178:33
	s_or_b32 s11, s9, 0x6c
	.loc	1 179 27                        ; attention_aot.py:179:27
	s_cmp_ge_i32 s11, s87
	.loc	1 230 20                        ; attention_aot.py:230:20
	s_cbranch_scc0 .LBB0_59
.LBB0_28:
	.loc	1 0 20 is_stmt 0                ; attention_aot.py:0:20
	v_mov_b32_e32 v31, 0
	.loc	1 178 33 is_stmt 1              ; attention_aot.py:178:33
	s_or_b32 s11, s9, 0x70
	.loc	1 179 27                        ; attention_aot.py:179:27
	s_cmp_ge_i32 s11, s87
	.loc	1 230 20                        ; attention_aot.py:230:20
	s_cbranch_scc0 .LBB0_60
.LBB0_29:
	.loc	1 0 20 is_stmt 0                ; attention_aot.py:0:20
	v_mov_b32_e32 v32, 0
	.loc	1 178 33 is_stmt 1              ; attention_aot.py:178:33
	s_or_b32 s11, s9, 0x74
	.loc	1 179 27                        ; attention_aot.py:179:27
	s_cmp_ge_i32 s11, s87
	.loc	1 230 20                        ; attention_aot.py:230:20
	s_cbranch_scc0 .LBB0_61
.LBB0_30:
	.loc	1 0 20 is_stmt 0                ; attention_aot.py:0:20
	v_mov_b32_e32 v33, 0
	.loc	1 178 33 is_stmt 1              ; attention_aot.py:178:33
	s_or_b32 s11, s9, 0x78
	.loc	1 179 27                        ; attention_aot.py:179:27
	s_cmp_ge_i32 s11, s87
	.loc	1 230 20                        ; attention_aot.py:230:20
	s_cbranch_scc0 .LBB0_62
.LBB0_31:
	.loc	1 0 20 is_stmt 0                ; attention_aot.py:0:20
	v_mov_b32_e32 v35, 0
	.loc	1 230 20                        ; attention_aot.py:230:20
	s_branch .LBB0_63
.LBB0_32:
	.loc	1 0 20                          ; attention_aot.py:0:20
	v_mov_b32_e32 v4, 0
	.loc	1 178 33 is_stmt 1              ; attention_aot.py:178:33
	s_or_b32 s11, s9, 4
	.loc	1 179 27                        ; attention_aot.py:179:27
	s_cmp_ge_i32 s11, s87
	.loc	1 230 20                        ; attention_aot.py:230:20
	s_cbranch_scc1 .LBB0_2
.LBB0_33:
	.loc	1 185 28                        ; attention_aot.py:185:28
	s_mul_i32 s18, s11, s22
	.loc	1 185 10 is_stmt 0              ; attention_aot.py:185:10
	s_ashr_i32 s19, s18, 31
	s_lshl_b64 s[18:19], s[18:19], 1
	s_add_u32 s18, s2, s18
	s_addc_u32 s19, s3, s19
	.loc	1 186 10 is_stmt 1              ; attention_aot.py:186:10
	v_lshl_add_u64 v[6:7], v[2:3], 1, s[18:19]
	.loc	1 230 20                        ; attention_aot.py:230:20
	global_load_ushort v5, v[6:7], off
	.loc	1 178 33                        ; attention_aot.py:178:33
	s_or_b32 s11, s9, 8
	.loc	1 179 27                        ; attention_aot.py:179:27
	s_cmp_ge_i32 s11, s87
	.loc	1 230 20                        ; attention_aot.py:230:20
	s_cbranch_scc1 .LBB0_3
.LBB0_34:
	.loc	1 185 28                        ; attention_aot.py:185:28
	s_mul_i32 s18, s11, s22
	.loc	1 185 10 is_stmt 0              ; attention_aot.py:185:10
	s_ashr_i32 s19, s18, 31
	s_lshl_b64 s[18:19], s[18:19], 1
	s_add_u32 s18, s2, s18
	s_addc_u32 s19, s3, s19
	.loc	1 186 10 is_stmt 1              ; attention_aot.py:186:10
	v_lshl_add_u64 v[6:7], v[2:3], 1, s[18:19]
	.loc	1 230 20                        ; attention_aot.py:230:20
	global_load_ushort v6, v[6:7], off
	.loc	1 178 33                        ; attention_aot.py:178:33
	s_or_b32 s11, s9, 12
	.loc	1 179 27                        ; attention_aot.py:179:27
	s_cmp_ge_i32 s11, s87
	.loc	1 230 20                        ; attention_aot.py:230:20
	s_cbranch_scc1 .LBB0_4
.LBB0_35:
	.loc	1 185 28                        ; attention_aot.py:185:28
	s_mul_i32 s18, s11, s22
	.loc	1 185 10 is_stmt 0              ; attention_aot.py:185:10
	s_ashr_i32 s19, s18, 31
	s_lshl_b64 s[18:19], s[18:19], 1
	s_add_u32 s18, s2, s18
	s_addc_u32 s19, s3, s19
	.loc	1 186 10 is_stmt 1              ; attention_aot.py:186:10
	v_lshl_add_u64 v[8:9], v[2:3], 1, s[18:19]
	.loc	1 230 20                        ; attention_aot.py:230:20
	global_load_ushort v7, v[8:9], off
	.loc	1 178 33                        ; attention_aot.py:178:33
	s_or_b32 s11, s9, 16
	.loc	1 179 27                        ; attention_aot.py:179:27
	s_cmp_ge_i32 s11, s87
	.loc	1 230 20                        ; attention_aot.py:230:20
	s_cbranch_scc1 .LBB0_5
.LBB0_36:
	.loc	1 185 28                        ; attention_aot.py:185:28
	s_mul_i32 s18, s11, s22
	.loc	1 185 10 is_stmt 0              ; attention_aot.py:185:10
	s_ashr_i32 s19, s18, 31
	s_lshl_b64 s[18:19], s[18:19], 1
	s_add_u32 s18, s2, s18
	s_addc_u32 s19, s3, s19
	.loc	1 186 10 is_stmt 1              ; attention_aot.py:186:10
	v_lshl_add_u64 v[8:9], v[2:3], 1, s[18:19]
	.loc	1 230 20                        ; attention_aot.py:230:20
	global_load_ushort v8, v[8:9], off
	.loc	1 178 33                        ; attention_aot.py:178:33
	s_or_b32 s11, s9, 20
	.loc	1 179 27                        ; attention_aot.py:179:27
	s_cmp_ge_i32 s11, s87
	.loc	1 230 20                        ; attention_aot.py:230:20
	s_cbranch_scc1 .LBB0_6
.LBB0_37:
	.loc	1 185 28                        ; attention_aot.py:185:28
	s_mul_i32 s18, s11, s22
	.loc	1 185 10 is_stmt 0              ; attention_aot.py:185:10
	s_ashr_i32 s19, s18, 31
	s_lshl_b64 s[18:19], s[18:19], 1
	s_add_u32 s18, s2, s18
	s_addc_u32 s19, s3, s19
	.loc	1 186 10 is_stmt 1              ; attention_aot.py:186:10
	v_lshl_add_u64 v[10:11], v[2:3], 1, s[18:19]
	.loc	1 230 20                        ; attention_aot.py:230:20
	global_load_ushort v9, v[10:11], off
	.loc	1 178 33                        ; attention_aot.py:178:33
	s_or_b32 s11, s9, 24
	.loc	1 179 27                        ; attention_aot.py:179:27
	s_cmp_ge_i32 s11, s87
	.loc	1 230 20                        ; attention_aot.py:230:20
	s_cbranch_scc1 .LBB0_7
.LBB0_38:
	.loc	1 185 28                        ; attention_aot.py:185:28
	s_mul_i32 s18, s11, s22
	.loc	1 185 10 is_stmt 0              ; attention_aot.py:185:10
	s_ashr_i32 s19, s18, 31
	s_lshl_b64 s[18:19], s[18:19], 1
	s_add_u32 s18, s2, s18
	s_addc_u32 s19, s3, s19
	.loc	1 186 10 is_stmt 1              ; attention_aot.py:186:10
	v_lshl_add_u64 v[10:11], v[2:3], 1, s[18:19]
	.loc	1 230 20                        ; attention_aot.py:230:20
	global_load_ushort v10, v[10:11], off
	.loc	1 178 33                        ; attention_aot.py:178:33
	s_or_b32 s11, s9, 28
	.loc	1 179 27                        ; attention_aot.py:179:27
	s_cmp_ge_i32 s11, s87
	.loc	1 230 20                        ; attention_aot.py:230:20
	s_cbranch_scc1 .LBB0_8
.LBB0_39:
	.loc	1 185 28                        ; attention_aot.py:185:28
	s_mul_i32 s18, s11, s22
	.loc	1 185 10 is_stmt 0              ; attention_aot.py:185:10
	s_ashr_i32 s19, s18, 31
	s_lshl_b64 s[18:19], s[18:19], 1
	s_add_u32 s18, s2, s18
	s_addc_u32 s19, s3, s19
	.loc	1 186 10 is_stmt 1              ; attention_aot.py:186:10
	v_lshl_add_u64 v[12:13], v[2:3], 1, s[18:19]
	.loc	1 230 20                        ; attention_aot.py:230:20
	global_load_ushort v11, v[12:13], off
	.loc	1 178 33                        ; attention_aot.py:178:33
	s_or_b32 s11, s9, 32
	.loc	1 179 27                        ; attention_aot.py:179:27
	s_cmp_ge_i32 s11, s87
	.loc	1 230 20                        ; attention_aot.py:230:20
	s_cbranch_scc1 .LBB0_9
.LBB0_40:
	.loc	1 185 28                        ; attention_aot.py:185:28
	s_mul_i32 s18, s11, s22
	.loc	1 185 10 is_stmt 0              ; attention_aot.py:185:10
	s_ashr_i32 s19, s18, 31
	s_lshl_b64 s[18:19], s[18:19], 1
	s_add_u32 s18, s2, s18
	s_addc_u32 s19, s3, s19
	.loc	1 186 10 is_stmt 1              ; attention_aot.py:186:10
	v_lshl_add_u64 v[12:13], v[2:3], 1, s[18:19]
	.loc	1 230 20                        ; attention_aot.py:230:20
	global_load_ushort v12, v[12:13], off
	.loc	1 178 33                        ; attention_aot.py:178:33
	s_or_b32 s11, s9, 36
	.loc	1 179 27                        ; attention_aot.py:179:27
	s_cmp_ge_i32 s11, s87
	.loc	1 230 20                        ; attention_aot.py:230:20
	s_cbranch_scc1 .LBB0_10
.LBB0_41:
	.loc	1 185 28                        ; attention_aot.py:185:28
	s_mul_i32 s18, s11, s22
	.loc	1 185 10 is_stmt 0              ; attention_aot.py:185:10
	s_ashr_i32 s19, s18, 31
	s_lshl_b64 s[18:19], s[18:19], 1
	s_add_u32 s18, s2, s18
	s_addc_u32 s19, s3, s19
	.loc	1 186 10 is_stmt 1              ; attention_aot.py:186:10
	v_lshl_add_u64 v[14:15], v[2:3], 1, s[18:19]
	.loc	1 230 20                        ; attention_aot.py:230:20
	global_load_ushort v13, v[14:15], off
	.loc	1 178 33                        ; attention_aot.py:178:33
	s_or_b32 s11, s9, 40
	.loc	1 179 27                        ; attention_aot.py:179:27
	s_cmp_ge_i32 s11, s87
	.loc	1 230 20                        ; attention_aot.py:230:20
	s_cbranch_scc1 .LBB0_11
.LBB0_42:
	.loc	1 185 28                        ; attention_aot.py:185:28
	s_mul_i32 s18, s11, s22
	.loc	1 185 10 is_stmt 0              ; attention_aot.py:185:10
	s_ashr_i32 s19, s18, 31
	s_lshl_b64 s[18:19], s[18:19], 1
	s_add_u32 s18, s2, s18
	s_addc_u32 s19, s3, s19
	.loc	1 186 10 is_stmt 1              ; attention_aot.py:186:10
	v_lshl_add_u64 v[14:15], v[2:3], 1, s[18:19]
	.loc	1 230 20                        ; attention_aot.py:230:20
	global_load_ushort v14, v[14:15], off
	.loc	1 178 33                        ; attention_aot.py:178:33
	s_or_b32 s11, s9, 44
	.loc	1 179 27                        ; attention_aot.py:179:27
	s_cmp_ge_i32 s11, s87
	.loc	1 230 20                        ; attention_aot.py:230:20
	s_cbranch_scc1 .LBB0_12
.LBB0_43:
	.loc	1 185 28                        ; attention_aot.py:185:28
	s_mul_i32 s18, s11, s22
	.loc	1 185 10 is_stmt 0              ; attention_aot.py:185:10
	s_ashr_i32 s19, s18, 31
	s_lshl_b64 s[18:19], s[18:19], 1
	s_add_u32 s18, s2, s18
	s_addc_u32 s19, s3, s19
	.loc	1 186 10 is_stmt 1              ; attention_aot.py:186:10
	v_lshl_add_u64 v[16:17], v[2:3], 1, s[18:19]
	.loc	1 230 20                        ; attention_aot.py:230:20
	global_load_ushort v15, v[16:17], off
	.loc	1 178 33                        ; attention_aot.py:178:33
	s_or_b32 s11, s9, 48
	.loc	1 179 27                        ; attention_aot.py:179:27
	s_cmp_ge_i32 s11, s87
	.loc	1 230 20                        ; attention_aot.py:230:20
	s_cbranch_scc1 .LBB0_13
.LBB0_44:
	.loc	1 185 28                        ; attention_aot.py:185:28
	s_mul_i32 s18, s11, s22
	.loc	1 185 10 is_stmt 0              ; attention_aot.py:185:10
	s_ashr_i32 s19, s18, 31
	s_lshl_b64 s[18:19], s[18:19], 1
	s_add_u32 s18, s2, s18
	s_addc_u32 s19, s3, s19
	.loc	1 186 10 is_stmt 1              ; attention_aot.py:186:10
	v_lshl_add_u64 v[16:17], v[2:3], 1, s[18:19]
	.loc	1 230 20                        ; attention_aot.py:230:20
	global_load_ushort v16, v[16:17], off
	.loc	1 178 33                        ; attention_aot.py:178:33
	s_or_b32 s11, s9, 52
	.loc	1 179 27                        ; attention_aot.py:179:27
	s_cmp_ge_i32 s11, s87
	.loc	1 230 20                        ; attention_aot.py:230:20
	s_cbranch_scc1 .LBB0_14
.LBB0_45:
	.loc	1 185 28                        ; attention_aot.py:185:28
	s_mul_i32 s18, s11, s22
	.loc	1 185 10 is_stmt 0              ; attention_aot.py:185:10
	s_ashr_i32 s19, s18, 31
	s_lshl_b64 s[18:19], s[18:19], 1
	s_add_u32 s18, s2, s18
	s_addc_u32 s19, s3, s19
	.loc	1 186 10 is_stmt 1              ; attention_aot.py:186:10
	v_lshl_add_u64 v[18:19], v[2:3], 1, s[18:19]
	.loc	1 230 20                        ; attention_aot.py:230:20
	global_load_ushort v17, v[18:19], off
	.loc	1 178 33                        ; attention_aot.py:178:33
	s_or_b32 s11, s9, 56
	.loc	1 179 27                        ; attention_aot.py:179:27
	s_cmp_ge_i32 s11, s87
	.loc	1 230 20                        ; attention_aot.py:230:20
	s_cbranch_scc1 .LBB0_15
.LBB0_46:
	.loc	1 185 28                        ; attention_aot.py:185:28
	s_mul_i32 s18, s11, s22
	.loc	1 185 10 is_stmt 0              ; attention_aot.py:185:10
	s_ashr_i32 s19, s18, 31
	s_lshl_b64 s[18:19], s[18:19], 1
	s_add_u32 s18, s2, s18
	s_addc_u32 s19, s3, s19
	.loc	1 186 10 is_stmt 1              ; attention_aot.py:186:10
	v_lshl_add_u64 v[18:19], v[2:3], 1, s[18:19]
	.loc	1 230 20                        ; attention_aot.py:230:20
	global_load_ushort v18, v[18:19], off
	.loc	1 178 33                        ; attention_aot.py:178:33
	s_or_b32 s11, s9, 60
	.loc	1 179 27                        ; attention_aot.py:179:27
	s_cmp_ge_i32 s11, s87
	.loc	1 230 20                        ; attention_aot.py:230:20
	s_cbranch_scc1 .LBB0_16
.LBB0_47:
	.loc	1 185 28                        ; attention_aot.py:185:28
	s_mul_i32 s18, s11, s22
	.loc	1 185 10 is_stmt 0              ; attention_aot.py:185:10
	s_ashr_i32 s19, s18, 31
	s_lshl_b64 s[18:19], s[18:19], 1
	s_add_u32 s18, s2, s18
	s_addc_u32 s19, s3, s19
	.loc	1 186 10 is_stmt 1              ; attention_aot.py:186:10
	v_lshl_add_u64 v[20:21], v[2:3], 1, s[18:19]
	.loc	1 230 20                        ; attention_aot.py:230:20
	global_load_ushort v19, v[20:21], off
	.loc	1 178 33                        ; attention_aot.py:178:33
	s_or_b32 s11, s9, 64
	.loc	1 179 27                        ; attention_aot.py:179:27
	s_cmp_ge_i32 s11, s87
	.loc	1 230 20                        ; attention_aot.py:230:20
	s_cbranch_scc1 .LBB0_17
.LBB0_48:
	.loc	1 185 28                        ; attention_aot.py:185:28
	s_mul_i32 s18, s11, s22
	.loc	1 185 10 is_stmt 0              ; attention_aot.py:185:10
	s_ashr_i32 s19, s18, 31
	s_lshl_b64 s[18:19], s[18:19], 1
	s_add_u32 s18, s2, s18
	s_addc_u32 s19, s3, s19
	.loc	1 186 10 is_stmt 1              ; attention_aot.py:186:10
	v_lshl_add_u64 v[20:21], v[2:3], 1, s[18:19]
	.loc	1 230 20                        ; attention_aot.py:230:20
	global_load_ushort v20, v[20:21], off
	.loc	1 178 33                        ; attention_aot.py:178:33
	s_or_b32 s11, s9, 0x44
	.loc	1 179 27                        ; attention_aot.py:179:27
	s_cmp_ge_i32 s11, s87
	.loc	1 230 20                        ; attention_aot.py:230:20
	s_cbranch_scc1 .LBB0_18
.LBB0_49:
	.loc	1 185 28                        ; attention_aot.py:185:28
	s_mul_i32 s18, s11, s22
	.loc	1 185 10 is_stmt 0              ; attention_aot.py:185:10
	s_ashr_i32 s19, s18, 31
	s_lshl_b64 s[18:19], s[18:19], 1
	s_add_u32 s18, s2, s18
	s_addc_u32 s19, s3, s19
	.loc	1 186 10 is_stmt 1              ; attention_aot.py:186:10
	v_lshl_add_u64 v[22:23], v[2:3], 1, s[18:19]
	.loc	1 230 20                        ; attention_aot.py:230:20
	global_load_ushort v21, v[22:23], off
	.loc	1 178 33                        ; attention_aot.py:178:33
	s_or_b32 s11, s9, 0x48
	.loc	1 179 27                        ; attention_aot.py:179:27
	s_cmp_ge_i32 s11, s87
	.loc	1 230 20                        ; attention_aot.py:230:20
	s_cbranch_scc1 .LBB0_19
.LBB0_50:
	.loc	1 185 28                        ; attention_aot.py:185:28
	s_mul_i32 s18, s11, s22
	.loc	1 185 10 is_stmt 0              ; attention_aot.py:185:10
	s_ashr_i32 s19, s18, 31
	s_lshl_b64 s[18:19], s[18:19], 1
	s_add_u32 s18, s2, s18
	s_addc_u32 s19, s3, s19
	.loc	1 186 10 is_stmt 1              ; attention_aot.py:186:10
	v_lshl_add_u64 v[22:23], v[2:3], 1, s[18:19]
	.loc	1 230 20                        ; attention_aot.py:230:20
	global_load_ushort v22, v[22:23], off
	.loc	1 178 33                        ; attention_aot.py:178:33
	s_or_b32 s11, s9, 0x4c
	.loc	1 179 27                        ; attention_aot.py:179:27
	s_cmp_ge_i32 s11, s87
	.loc	1 230 20                        ; attention_aot.py:230:20
	s_cbranch_scc1 .LBB0_20
.LBB0_51:
	.loc	1 185 28                        ; attention_aot.py:185:28
	s_mul_i32 s18, s11, s22
	.loc	1 185 10 is_stmt 0              ; attention_aot.py:185:10
	s_ashr_i32 s19, s18, 31
	s_lshl_b64 s[18:19], s[18:19], 1
	s_add_u32 s18, s2, s18
	s_addc_u32 s19, s3, s19
	.loc	1 186 10 is_stmt 1              ; attention_aot.py:186:10
	v_lshl_add_u64 v[24:25], v[2:3], 1, s[18:19]
	.loc	1 230 20                        ; attention_aot.py:230:20
	global_load_ushort v23, v[24:25], off
	.loc	1 178 33                        ; attention_aot.py:178:33
	s_or_b32 s11, s9, 0x50
	.loc	1 179 27                        ; attention_aot.py:179:27
	s_cmp_ge_i32 s11, s87
	.loc	1 230 20                        ; attention_aot.py:230:20
	s_cbranch_scc1 .LBB0_21
.LBB0_52:
	.loc	1 185 28                        ; attention_aot.py:185:28
	s_mul_i32 s18, s11, s22
	.loc	1 185 10 is_stmt 0              ; attention_aot.py:185:10
	s_ashr_i32 s19, s18, 31
	s_lshl_b64 s[18:19], s[18:19], 1
	s_add_u32 s18, s2, s18
	s_addc_u32 s19, s3, s19
	.loc	1 186 10 is_stmt 1              ; attention_aot.py:186:10
	v_lshl_add_u64 v[24:25], v[2:3], 1, s[18:19]
	.loc	1 230 20                        ; attention_aot.py:230:20
	global_load_ushort v24, v[24:25], off
	.loc	1 178 33                        ; attention_aot.py:178:33
	s_or_b32 s11, s9, 0x54
	.loc	1 179 27                        ; attention_aot.py:179:27
	s_cmp_ge_i32 s11, s87
	.loc	1 230 20                        ; attention_aot.py:230:20
	s_cbranch_scc1 .LBB0_22
.LBB0_53:
	.loc	1 185 28                        ; attention_aot.py:185:28
	s_mul_i32 s18, s11, s22
	.loc	1 185 10 is_stmt 0              ; attention_aot.py:185:10
	s_ashr_i32 s19, s18, 31
	s_lshl_b64 s[18:19], s[18:19], 1
	s_add_u32 s18, s2, s18
	s_addc_u32 s19, s3, s19
	.loc	1 186 10 is_stmt 1              ; attention_aot.py:186:10
	v_lshl_add_u64 v[26:27], v[2:3], 1, s[18:19]
	.loc	1 230 20                        ; attention_aot.py:230:20
	global_load_ushort v25, v[26:27], off
	.loc	1 178 33                        ; attention_aot.py:178:33
	s_or_b32 s11, s9, 0x58
	.loc	1 179 27                        ; attention_aot.py:179:27
	s_cmp_ge_i32 s11, s87
	.loc	1 230 20                        ; attention_aot.py:230:20
	s_cbranch_scc1 .LBB0_23
.LBB0_54:
	.loc	1 185 28                        ; attention_aot.py:185:28
	s_mul_i32 s18, s11, s22
	.loc	1 185 10 is_stmt 0              ; attention_aot.py:185:10
	s_ashr_i32 s19, s18, 31
	s_lshl_b64 s[18:19], s[18:19], 1
	s_add_u32 s18, s2, s18
	s_addc_u32 s19, s3, s19
	.loc	1 186 10 is_stmt 1              ; attention_aot.py:186:10
	v_lshl_add_u64 v[26:27], v[2:3], 1, s[18:19]
	.loc	1 230 20                        ; attention_aot.py:230:20
	global_load_ushort v26, v[26:27], off
	.loc	1 178 33                        ; attention_aot.py:178:33
	s_or_b32 s11, s9, 0x5c
	.loc	1 179 27                        ; attention_aot.py:179:27
	s_cmp_ge_i32 s11, s87
	.loc	1 230 20                        ; attention_aot.py:230:20
	s_cbranch_scc1 .LBB0_24
.LBB0_55:
	.loc	1 185 28                        ; attention_aot.py:185:28
	s_mul_i32 s18, s11, s22
	.loc	1 185 10 is_stmt 0              ; attention_aot.py:185:10
	s_ashr_i32 s19, s18, 31
	s_lshl_b64 s[18:19], s[18:19], 1
	s_add_u32 s18, s2, s18
	s_addc_u32 s19, s3, s19
	.loc	1 186 10 is_stmt 1              ; attention_aot.py:186:10
	v_lshl_add_u64 v[28:29], v[2:3], 1, s[18:19]
	.loc	1 230 20                        ; attention_aot.py:230:20
	global_load_ushort v27, v[28:29], off
	.loc	1 178 33                        ; attention_aot.py:178:33
	s_or_b32 s11, s9, 0x60
	.loc	1 179 27                        ; attention_aot.py:179:27
	s_cmp_ge_i32 s11, s87
	.loc	1 230 20                        ; attention_aot.py:230:20
	s_cbranch_scc1 .LBB0_25
.LBB0_56:
	.loc	1 185 28                        ; attention_aot.py:185:28
	s_mul_i32 s18, s11, s22
	.loc	1 185 10 is_stmt 0              ; attention_aot.py:185:10
	s_ashr_i32 s19, s18, 31
	s_lshl_b64 s[18:19], s[18:19], 1
	s_add_u32 s18, s2, s18
	s_addc_u32 s19, s3, s19
	.loc	1 186 10 is_stmt 1              ; attention_aot.py:186:10
	v_lshl_add_u64 v[28:29], v[2:3], 1, s[18:19]
	.loc	1 230 20                        ; attention_aot.py:230:20
	global_load_ushort v28, v[28:29], off
	.loc	1 178 33                        ; attention_aot.py:178:33
	s_or_b32 s11, s9, 0x64
	.loc	1 179 27                        ; attention_aot.py:179:27
	s_cmp_ge_i32 s11, s87
	.loc	1 230 20                        ; attention_aot.py:230:20
	s_cbranch_scc1 .LBB0_26
.LBB0_57:
	.loc	1 185 28                        ; attention_aot.py:185:28
	s_mul_i32 s18, s11, s22
	.loc	1 185 10 is_stmt 0              ; attention_aot.py:185:10
	s_ashr_i32 s19, s18, 31
	s_lshl_b64 s[18:19], s[18:19], 1
	s_add_u32 s18, s2, s18
	s_addc_u32 s19, s3, s19
	.loc	1 186 10 is_stmt 1              ; attention_aot.py:186:10
	v_lshl_add_u64 v[30:31], v[2:3], 1, s[18:19]
	.loc	1 230 20                        ; attention_aot.py:230:20
	global_load_ushort v29, v[30:31], off
	.loc	1 178 33                        ; attention_aot.py:178:33
	s_or_b32 s11, s9, 0x68
	.loc	1 179 27                        ; attention_aot.py:179:27
	s_cmp_ge_i32 s11, s87
	.loc	1 230 20                        ; attention_aot.py:230:20
	s_cbranch_scc1 .LBB0_27
.LBB0_58:
	.loc	1 185 28                        ; attention_aot.py:185:28
	s_mul_i32 s18, s11, s22
	.loc	1 185 10 is_stmt 0              ; attention_aot.py:185:10
	s_ashr_i32 s19, s18, 31
	s_lshl_b64 s[18:19], s[18:19], 1
	s_add_u32 s18, s2, s18
	s_addc_u32 s19, s3, s19
	.loc	1 186 10 is_stmt 1              ; attention_aot.py:186:10
	v_lshl_add_u64 v[30:31], v[2:3], 1, s[18:19]
	.loc	1 230 20                        ; attention_aot.py:230:20
	global_load_ushort v30, v[30:31], off
	.loc	1 178 33                        ; attention_aot.py:178:33
	s_or_b32 s11, s9, 0x6c
	.loc	1 179 27                        ; attention_aot.py:179:27
	s_cmp_ge_i32 s11, s87
	.loc	1 230 20                        ; attention_aot.py:230:20
	s_cbranch_scc1 .LBB0_28
.LBB0_59:
	.loc	1 185 28                        ; attention_aot.py:185:28
	s_mul_i32 s18, s11, s22
	.loc	1 185 10 is_stmt 0              ; attention_aot.py:185:10
	s_ashr_i32 s19, s18, 31
	s_lshl_b64 s[18:19], s[18:19], 1
	s_add_u32 s18, s2, s18
	s_addc_u32 s19, s3, s19
	.loc	1 186 10 is_stmt 1              ; attention_aot.py:186:10
	v_lshl_add_u64 v[32:33], v[2:3], 1, s[18:19]
	.loc	1 230 20                        ; attention_aot.py:230:20
	global_load_ushort v31, v[32:33], off
	.loc	1 178 33                        ; attention_aot.py:178:33
	s_or_b32 s11, s9, 0x70
	.loc	1 179 27                        ; attention_aot.py:179:27
	s_cmp_ge_i32 s11, s87
	.loc	1 230 20                        ; attention_aot.py:230:20
	s_cbranch_scc1 .LBB0_29
.LBB0_60:
	.loc	1 185 28                        ; attention_aot.py:185:28
	s_mul_i32 s18, s11, s22
	.loc	1 185 10 is_stmt 0              ; attention_aot.py:185:10
	s_ashr_i32 s19, s18, 31
	s_lshl_b64 s[18:19], s[18:19], 1
	s_add_u32 s18, s2, s18
	s_addc_u32 s19, s3, s19
	.loc	1 186 10 is_stmt 1              ; attention_aot.py:186:10
	v_lshl_add_u64 v[32:33], v[2:3], 1, s[18:19]
	.loc	1 230 20                        ; attention_aot.py:230:20
	global_load_ushort v32, v[32:33], off
	.loc	1 178 33                        ; attention_aot.py:178:33
	s_or_b32 s11, s9, 0x74
	.loc	1 179 27                        ; attention_aot.py:179:27
	s_cmp_ge_i32 s11, s87
	.loc	1 230 20                        ; attention_aot.py:230:20
	s_cbranch_scc1 .LBB0_30
.LBB0_61:
	.loc	1 185 28                        ; attention_aot.py:185:28
	s_mul_i32 s18, s11, s22
	.loc	1 185 10 is_stmt 0              ; attention_aot.py:185:10
	s_ashr_i32 s19, s18, 31
	s_lshl_b64 s[18:19], s[18:19], 1
	s_add_u32 s18, s2, s18
	s_addc_u32 s19, s3, s19
	.loc	1 186 10 is_stmt 1              ; attention_aot.py:186:10
	v_lshl_add_u64 v[34:35], v[2:3], 1, s[18:19]
	.loc	1 230 20                        ; attention_aot.py:230:20
	global_load_ushort v33, v[34:35], off
	.loc	1 178 33                        ; attention_aot.py:178:33
	s_or_b32 s11, s9, 0x78
	.loc	1 179 27                        ; attention_aot.py:179:27
	s_cmp_ge_i32 s11, s87
	.loc	1 230 20                        ; attention_aot.py:230:20
	s_cbranch_scc1 .LBB0_31
.LBB0_62:
	.loc	1 185 28                        ; attention_aot.py:185:28
	s_mul_i32 s18, s11, s22
	.loc	1 185 10 is_stmt 0              ; attention_aot.py:185:10
	s_ashr_i32 s19, s18, 31
	s_lshl_b64 s[18:19], s[18:19], 1
	s_add_u32 s18, s2, s18
	s_addc_u32 s19, s3, s19
	.loc	1 186 10 is_stmt 1              ; attention_aot.py:186:10
	v_lshl_add_u64 v[34:35], v[2:3], 1, s[18:19]
	.loc	1 230 20                        ; attention_aot.py:230:20
	global_load_ushort v35, v[34:35], off
.LBB0_63:
	.loc	1 0 20 is_stmt 0                ; attention_aot.py:0:20
	s_load_dword s90, s[0:1], 0x98
	s_and_b32 s89, s8, 0x180
	.loc	1 178 33 is_stmt 1              ; attention_aot.py:178:33
	s_or_b32 s9, s9, 0x7c
	.loc	1 179 27                        ; attention_aot.py:179:27
	s_cmp_ge_i32 s9, s87
	.loc	1 230 20                        ; attention_aot.py:230:20
	s_cbranch_scc1 .LBB0_65
; %bb.64:
	.loc	1 185 28                        ; attention_aot.py:185:28
	s_mul_i32 s18, s9, s22
	.loc	1 185 10 is_stmt 0              ; attention_aot.py:185:10
	s_ashr_i32 s19, s18, 31
	s_lshl_b64 s[18:19], s[18:19], 1
	s_add_u32 s2, s2, s18
	s_addc_u32 s3, s3, s19
	.loc	1 186 10 is_stmt 1              ; attention_aot.py:186:10
	v_lshl_add_u64 v[2:3], v[2:3], 1, s[2:3]
	.loc	1 230 20                        ; attention_aot.py:230:20
	global_load_ushort v2, v[2:3], off
	s_branch .LBB0_66
.LBB0_65:
	.loc	1 0 20 is_stmt 0                ; attention_aot.py:0:20
	v_mov_b32_e32 v2, 0
.LBB0_66:
	.loc	1 230 20 is_stmt 1              ; attention_aot.py:230:20
	v_lshlrev_b32_e32 v3, 1, v1
	v_and_b32_e32 v3, 0x3fe, v3
	s_lshr_b32 s11, s89, 4
	v_xor_b32_e32 v3, s11, v3
	v_add_u32_e32 v36, 0, v3
	s_waitcnt vmcnt(0)
	ds_write_b16 v36, v4
	ds_write_b16 v36, v8 offset:4096
	ds_write_b16 v36, v12 offset:8192
	;; [unrolled: 1-line block ×7, first 2 shown]
	v_xad_u32 v4, v3, 32, 0
	.loc	1 175 33                        ; attention_aot.py:175:33
	v_and_b32_e32 v44, 31, v0
	.loc	1 230 20                        ; attention_aot.py:230:20
	ds_write_b16 v4, v5 offset:1024
	ds_write_b16 v4, v9 offset:5120
	ds_write_b16 v4, v13 offset:9216
	ds_write_b16 v4, v17 offset:13312
	ds_write_b16 v4, v21 offset:17408
	ds_write_b16 v4, v25 offset:21504
	ds_write_b16 v4, v29 offset:25600
	ds_write_b16 v4, v33 offset:29696
	v_xad_u32 v4, v3, 64, 0
	v_xor_b32_e32 v3, 0x60, v3
	s_and_b32 s91, s8, 0xc0
	.loc	1 180 26                        ; attention_aot.py:180:26
	v_and_b32_e32 v34, 32, v0
	.loc	1 230 20                        ; attention_aot.py:230:20
	v_add_u32_e32 v3, 0, v3
.Ltmp2:
	.loc	1 50 33                         ; attention_aot.py:50:33 @[ attention_aot.py:258:12 ]
	s_waitcnt lgkmcnt(0)
	s_cmp_gt_i32 s90, 0
	v_lshlrev_b32_e32 v45, 2, v44
.Ltmp3:
	.loc	1 230 20                        ; attention_aot.py:230:20
	ds_write_b16 v4, v6 offset:2048
	ds_write_b16 v4, v10 offset:6144
	;; [unrolled: 1-line block ×16, first 2 shown]
	s_waitcnt lgkmcnt(0)
	s_barrier
.Ltmp4:
	.loc	1 50 33                         ; attention_aot.py:50:33 @[ attention_aot.py:258:12 ]
	s_cbranch_scc1 .LBB0_68
.Ltmp5:
; %bb.67:                               ; %.._crit_edge_crit_edge
	.loc	1 291 16                        ; attention_aot.py:291:16
	s_lshl_b32 s9, s91, 1
	s_mov_b64 s[2:3], 0
	v_mov_b32_e32 v35, s9
	s_branch .LBB0_69
.LBB0_68:
	.loc	1 0 16 is_stmt 0                ; attention_aot.py:0:16
	s_mov_b64 s[2:3], -1
                                        ; implicit-def: $vgpr35
.LBB0_69:                               ; %Flow
	v_lshrrev_b32_e32 v2, 3, v34
	scratch_store_dword off, v2, off        ; 4-byte Folded Spill
	s_and_b32 s88, s8, 64
	s_andn2_b64 vcc, exec, s[2:3]
	v_mov_b32_e32 v205, 0xff800000
	v_mov_b32_e32 v206, 1.0
	v_mov_b32_e32 v17, 0
	v_mov_b32_e32 v16, 0
	;; [unrolled: 1-line block ×32, first 2 shown]
	s_cbranch_vccnz .LBB0_138
; %bb.70:                               ; %.lr.ph
	s_load_dwordx4 s[20:23], s[0:1], 0x48
	s_load_dwordx2 s[66:67], s[0:1], 0x60
	.loc	1 163 28 is_stmt 1              ; attention_aot.py:163:28
	s_ashr_i32 s2, s33, 31
	s_lshr_b32 s2, s2, 30
	s_add_i32 s2, s33, s2
	s_ashr_i32 s2, s2, 2
	.loc	1 172 32                        ; attention_aot.py:172:32
	s_waitcnt lgkmcnt(0)
	s_mul_i32 s9, s86, s20
	.loc	1 172 75 is_stmt 0              ; attention_aot.py:172:75
	s_mul_hi_i32 s18, s2, s21
	s_mul_i32 s2, s2, s21
	.loc	1 172 32                        ; attention_aot.py:172:32
	s_mul_hi_i32 s3, s86, s20
	.loc	1 172 49                        ; attention_aot.py:172:49
	s_add_u32 s72, s2, s9
	s_addc_u32 s73, s18, s3
	.loc	1 192 24 is_stmt 1              ; attention_aot.py:192:24
	s_and_b32 s93, s8, 0x1c0
	s_lshr_b32 s2, s93, 4
	.loc	1 192 35 is_stmt 0              ; attention_aot.py:192:35
	s_mul_i32 s2, s2, s23
	s_mul_i32 s3, s23, 3
	s_add_i32 s20, s2, s3
	s_lshl_b32 s3, s23, 5
	s_add_i32 s24, s2, s3
	s_mul_i32 s3, s23, 33
	s_add_i32 s26, s2, s3
	s_mul_i32 s3, s23, 34
	;; [unrolled: 2-line block ×3, first 2 shown]
	s_add_i32 s30, s2, s3
	s_lshl_b32 s3, s23, 6
	s_add_i32 s34, s2, s3
	s_mul_i32 s3, s23, 0x41
	s_add_i32 s36, s2, s3
	s_mul_i32 s3, s23, 0x42
	;; [unrolled: 2-line block ×5, first 2 shown]
	.loc	1 180 26 is_stmt 1              ; attention_aot.py:180:26
	s_lshr_b32 s92, s89, 5
	.loc	1 192 35                        ; attention_aot.py:192:35
	s_add_i32 s44, s2, s3
	s_mul_i32 s3, s23, 0x62
	s_add_i32 s8, s2, s23
	s_lshl1_add_u32 s18, s23, s2
	s_add_i32 s46, s2, s3
	s_mul_i32 s3, s23, 0x63
	.loc	1 197 28                        ; attention_aot.py:197:28
	s_mul_i32 s50, s92, s66
	s_mul_i32 s23, s66, 3
	s_add_i32 s54, s50, s23
	s_mul_i32 s23, s66, 17
	s_add_i32 s58, s50, s23
	;; [unrolled: 2-line block ×4, first 2 shown]
	s_lshl_b32 s23, s66, 5
	s_add_i32 s64, s50, s23
	s_mul_i32 s23, s66, 33
	s_add_i32 s70, s50, s23
	s_mul_i32 s23, s66, 34
	;; [unrolled: 2-line block ×7, first 2 shown]
	v_and_b32_e32 v11, 63, v0
	.loc	1 192 35                        ; attention_aot.py:192:35
	s_add_i32 s48, s2, s3
	.loc	1 197 28                        ; attention_aot.py:197:28
	s_lshl1_add_u32 s52, s66, s50
	s_lshl4_add_u32 s56, s66, s50
	.loc	1 197 10 is_stmt 0              ; attention_aot.py:197:10
	s_ashr_i32 s69, s66, 31
	s_mov_b32 s68, s66
	.loc	1 197 28                        ; attention_aot.py:197:28
	s_add_i32 s74, s50, s23
	.loc	1 192 10 is_stmt 1              ; attention_aot.py:192:10
	s_ashr_i32 s3, s2, 31
	s_ashr_i32 s9, s8, 31
	;; [unrolled: 1-line block ×16, first 2 shown]
	.loc	1 197 10                        ; attention_aot.py:197:10
	s_ashr_i32 s51, s50, 31
	.loc	1 191 28                        ; attention_aot.py:191:28
	v_mul_lo_u32 v2, s22, v11
.Ltmp6:
	.loc	1 108 33                        ; attention_aot.py:108:33 @[ attention_aot.py:258:12 ]
	s_lshl_b32 s22, s22, 6
.Ltmp7:
	.loc	1 197 10                        ; attention_aot.py:197:10
	s_lshl_b64 s[68:69], s[68:69], 1
	s_ashr_i32 s53, s52, 31
	s_ashr_i32 s55, s54, 31
	;; [unrolled: 1-line block ×14, first 2 shown]
.Ltmp8:
	.loc	1 50 33                         ; attention_aot.py:50:33 @[ attention_aot.py:258:12 ]
	v_or_b32_e32 v3, s88, v11
	.loc	1 109 33                        ; attention_aot.py:109:33 @[ attention_aot.py:258:12 ]
	s_lshl_b32 s66, s66, 6
	s_lshr_b32 s95, s93, 3
	s_lshl_b32 s93, s91, 1
	s_lshr_b32 s94, s89, 1
	.loc	1 50 33                         ; attention_aot.py:50:33 @[ attention_aot.py:258:12 ]
	v_and_b32_e32 v3, 0xffff, v3
.Ltmp9:
	.loc	1 186 24                        ; attention_aot.py:186:24
	s_cmp_eq_u32 s88, 0
.Ltmp10:
	.loc	1 50 33                         ; attention_aot.py:50:33 @[ attention_aot.py:258:12 ]
	v_mul_lo_u32 v4, s67, v3
	s_cselect_b32 s96, 0, 0x1010
	s_ashr_i32 s23, s22, 31
	s_ashr_i32 s67, s66, 31
	s_lshl_b64 s[72:73], s[72:73], 1
	s_lshl_b64 s[74:75], s[74:75], 1
	s_add_u32 s74, s6, s74
	v_ashrrev_i32_e32 v5, 31, v4
	s_addc_u32 s75, s7, s75
	v_lshlrev_b64 v[4:5], 1, v[4:5]
	v_lshl_add_u64 v[98:99], s[74:75], 0, v[4:5]
	s_lshl_b64 s[74:75], s[66:67], 1
	s_lshl_b64 s[66:67], s[84:85], 1
	s_add_u32 s66, s6, s66
	s_addc_u32 s67, s7, s67
	v_lshl_add_u64 v[100:101], s[66:67], 0, v[4:5]
	s_lshl_b64 s[66:67], s[82:83], 1
	s_add_u32 s66, s6, s66
	s_addc_u32 s67, s7, s67
	v_lshl_add_u64 v[102:103], s[66:67], 0, v[4:5]
	;; [unrolled: 4-line block ×3, first 2 shown]
	s_lshl_b64 s[66:67], s[78:79], 1
	s_add_u32 s66, s6, s66
	s_addc_u32 s67, s7, s67
.Ltmp11:
	.loc	1 230 20                        ; attention_aot.py:230:20
	v_and_b32_e32 v7, 15, v0
	v_lshrrev_b32_e32 v1, 1, v1
.Ltmp12:
	.loc	1 50 33                         ; attention_aot.py:50:33 @[ attention_aot.py:258:12 ]
	v_lshl_add_u64 v[106:107], s[66:67], 0, v[4:5]
	s_lshl_b64 s[66:67], s[76:77], 1
.Ltmp13:
	.loc	1 230 20                        ; attention_aot.py:230:20
	v_lshlrev_b32_e32 v8, 3, v7
	v_and_b32_e32 v1, 56, v1
.Ltmp14:
	.loc	1 50 33                         ; attention_aot.py:50:33 @[ attention_aot.py:258:12 ]
	s_add_u32 s66, s6, s66
	.loc	1 83 29                         ; attention_aot.py:83:29 @[ attention_aot.py:258:12 ]
	v_mov_b32_e32 v3, 0x3fb8aa3b
	v_xor_b32_e32 v1, v8, v1
	.loc	1 50 33                         ; attention_aot.py:50:33 @[ attention_aot.py:258:12 ]
	s_addc_u32 s67, s7, s67
	.loc	1 83 29                         ; attention_aot.py:83:29 @[ attention_aot.py:258:12 ]
	v_mul_f32_e32 v178, s10, v3
	v_xor_b32_e32 v1, s11, v1
	.loc	1 50 33                         ; attention_aot.py:50:33 @[ attention_aot.py:258:12 ]
	s_lshl_b64 s[10:11], s[70:71], 1
	s_add_u32 s10, s6, s10
	s_addc_u32 s11, s7, s11
	v_lshl_add_u64 v[108:109], s[10:11], 0, v[4:5]
	s_lshl_b64 s[10:11], s[64:65], 1
	s_add_u32 s10, s6, s10
	s_addc_u32 s11, s7, s11
	v_lshl_add_u64 v[110:111], s[10:11], 0, v[4:5]
	;; [unrolled: 4-line block ×7, first 2 shown]
	s_lshl_b64 s[10:11], s[52:53], 1
	s_add_u32 s10, s6, s10
	s_addc_u32 s11, s7, s11
	v_lshrrev_b32_e32 v3, 1, v0
	v_lshl_add_u64 v[122:123], s[10:11], 0, v[4:5]
	s_lshl_b64 s[10:11], s[50:51], 1
	v_and_b32_e32 v3, 24, v3
	s_add_u32 s50, s68, s10
	v_xor_b32_e32 v6, s95, v3
.Ltmp15:
	.loc	1 230 20                        ; attention_aot.py:230:20
	v_lshrrev_b32_e32 v9, 2, v34
	v_lshl_or_b32 v3, s91, 7, v8
.Ltmp16:
	.loc	1 50 33                         ; attention_aot.py:50:33 @[ attention_aot.py:258:12 ]
	s_addc_u32 s51, s69, s11
.Ltmp17:
	.loc	1 230 20                        ; attention_aot.py:230:20
	v_xor_b32_e32 v3, v3, v9
.Ltmp18:
	.loc	1 50 33                         ; attention_aot.py:50:33 @[ attention_aot.py:258:12 ]
	s_add_u32 s50, s6, s50
.Ltmp19:
	.loc	1 230 20                        ; attention_aot.py:230:20
	v_lshl_or_b32 v3, v44, 8, v3
.Ltmp20:
	.loc	1 50 33                         ; attention_aot.py:50:33 @[ attention_aot.py:258:12 ]
	s_addc_u32 s51, s7, s51
.Ltmp21:
	.loc	1 230 20                        ; attention_aot.py:230:20
	v_xor_b32_e32 v10, 0x50, v3
.Ltmp22:
	.loc	1 50 33                         ; attention_aot.py:50:33 @[ attention_aot.py:258:12 ]
	s_add_u32 s6, s6, s10
.Ltmp23:
	.loc	1 230 20                        ; attention_aot.py:230:20
	v_add_u32_e32 v35, 0, v3
	v_xad_u32 v36, v3, 16, 0
	v_xad_u32 v37, v3, 32, 0
	;; [unrolled: 1-line block ×4, first 2 shown]
	v_add_u32_e32 v40, 0, v10
	v_xor_b32_e32 v10, 0x60, v3
	v_xor_b32_e32 v3, 0x70, v3
.Ltmp24:
	.loc	1 50 33                         ; attention_aot.py:50:33 @[ attention_aot.py:258:12 ]
	s_addc_u32 s7, s7, s11
.Ltmp25:
	.loc	1 230 20                        ; attention_aot.py:230:20
	v_add_u32_e32 v42, 0, v3
	v_lshl_add_u32 v3, v34, 5, 0
.Ltmp26:
	.loc	1 50 33                         ; attention_aot.py:50:33 @[ attention_aot.py:258:12 ]
	v_lshl_add_u64 v[126:127], s[6:7], 0, v[4:5]
	s_lshl_b64 s[6:7], s[48:49], 1
	v_lshl_add_u32 v179, v44, 1, v3
.Ltmp27:
	.loc	1 191 10                        ; attention_aot.py:191:10
	v_ashrrev_i32_e32 v3, 31, v2
.Ltmp28:
	.loc	1 50 33                         ; attention_aot.py:50:33 @[ attention_aot.py:258:12 ]
	s_add_u32 s6, s4, s6
	v_lshlrev_b64 v[2:3], 1, v[2:3]
	s_addc_u32 s7, s5, s7
	v_lshl_add_u64 v[128:129], s[6:7], 0, v[2:3]
	s_lshl_b64 s[76:77], s[22:23], 1
	s_lshl_b64 s[6:7], s[46:47], 1
	s_add_u32 s6, s4, s6
	s_addc_u32 s7, s5, s7
	v_lshl_add_u64 v[130:131], s[6:7], 0, v[2:3]
	s_lshl_b64 s[6:7], s[44:45], 1
	s_add_u32 s6, s4, s6
	s_addc_u32 s7, s5, s7
	v_lshl_add_u64 v[132:133], s[6:7], 0, v[2:3]
	s_lshl_b64 s[6:7], s[42:43], 1
	s_add_u32 s6, s4, s6
	s_addc_u32 s7, s5, s7
	s_lshl_b64 s[10:11], s[40:41], 1
	s_add_u32 s10, s4, s10
	s_addc_u32 s11, s5, s11
	;; [unrolled: 3-line block ×10, first 2 shown]
	s_lshl_b64 s[18:19], s[18:19], 1
.Ltmp29:
	.loc	1 230 20                        ; attention_aot.py:230:20
	v_add_u32_e32 v41, 0, v10
.Ltmp30:
	.loc	1 50 33                         ; attention_aot.py:50:33 @[ attention_aot.py:258:12 ]
	s_add_u32 s18, s4, s18
.Ltmp31:
	.loc	1 230 20                        ; attention_aot.py:230:20
	ds_read2_b64 v[66:69], v35 offset1:16
	ds_read2_b64 v[70:73], v36 offset1:16
	ds_read2_b64 v[74:77], v37 offset1:16
	ds_read2_b64 v[78:81], v38 offset1:16
	ds_read2_b64 v[82:85], v39 offset1:16
	ds_read2_b64 v[86:89], v40 offset1:16
	ds_read2_b64 v[90:93], v41 offset1:16
	ds_read2_b64 v[94:97], v42 offset1:16
.Ltmp32:
	.loc	1 50 33                         ; attention_aot.py:50:33 @[ attention_aot.py:258:12 ]
	s_addc_u32 s19, s5, s19
	s_lshl_b64 s[8:9], s[8:9], 1
	v_xor_b32_e32 v6, v6, v8
	v_bfe_i32 v8, v0, 4, 1
	s_add_u32 s8, s4, s8
	v_mov_b32_e32 v161, v11
	v_lshl_or_b32 v6, v11, 8, v6
	v_and_b32_e32 v10, 0x1008, v8
	v_mul_u32_u24_e32 v11, 0x108, v7
	v_lshlrev_b32_e32 v0, 2, v0
	s_addc_u32 s9, s5, s9
	s_lshl_b64 s[2:3], s[2:3], 1
	v_xor_b32_e32 v10, v11, v10
	v_xor_b32_e32 v180, 0x80, v0
	v_lshl_or_b32 v11, v43, 7, v1
	v_and_b32_e32 v0, 0x808, v8
	v_mul_u32_u24_e32 v1, 0x88, v7
	s_add_u32 s2, s4, s2
	v_xor_b32_e32 v0, v1, v0
	s_addc_u32 s3, s5, s3
	v_xor_b32_e32 v10, v10, v9
	v_xor_b32_e32 v0, s96, v0
	v_lshl_add_u64 v[134:135], s[6:7], 0, v[2:3]
	v_lshl_add_u64 v[136:137], s[10:11], 0, v[2:3]
	;; [unrolled: 1-line block ×13, first 2 shown]
	v_xor_b32_e32 v2, 64, v6
	v_xor_b32_e32 v7, v0, v9
	v_lshl_add_u64 v[0:1], s[66:67], 0, v[4:5]
	v_lshl_add_u64 v[124:125], s[50:51], 0, v[4:5]
	v_add_u32_e32 v182, 0, v2
	v_xor_b32_e32 v2, 16, v10
	v_xor_b32_e32 v3, 32, v10
	;; [unrolled: 1-line block ×3, first 2 shown]
	v_add_u32_e32 v181, 0, v6
	v_xor_b32_e32 v5, 64, v10
	v_xor_b32_e32 v6, 0x50, v10
	;; [unrolled: 1-line block ×4, first 2 shown]
	v_add_u32_e32 v184, 0, v2
	v_add_u32_e32 v185, 0, v3
	;; [unrolled: 1-line block ×3, first 2 shown]
	v_xor_b32_e32 v2, 32, v11
	v_xor_b32_e32 v3, 64, v11
	v_xor_b32_e32 v4, 0x60, v11
	v_add_u32_e32 v187, 0, v5
	v_add_u32_e32 v188, 0, v6
	;; [unrolled: 1-line block ×7, first 2 shown]
	v_xor_b32_e32 v2, 16, v7
	v_xor_b32_e32 v3, 32, v7
	;; [unrolled: 1-line block ×7, first 2 shown]
	v_mov_b32_e32 v32, 0
.Ltmp33:
	.loc	1 230 20                        ; attention_aot.py:230:20
	s_mov_b32 s78, 0
	s_mov_b32 s79, 0x5040100
	v_add_u32_e32 v183, 0, v10
	v_add_u32_e32 v191, 0, v11
	;; [unrolled: 1-line block ×10, first 2 shown]
	v_mov_b32_e32 v33, v32
	v_mov_b32_e32 v30, v32
	;; [unrolled: 1-line block ×31, first 2 shown]
	v_add_u32_e32 v203, 0, v45
	v_mov_b32_e32 v160, 0xff800000
	v_mov_b32_e32 v162, 1.0
	v_mov_b32_e32 v204, 0xff800000
	scratch_store_dword off, v44, off offset:8 ; 4-byte Folded Spill
	scratch_store_dword off, v43, off offset:4 ; 4-byte Folded Spill
	;; [unrolled: 1-line block ×3, first 2 shown]
	s_branch .LBB0_73
.LBB0_71:                               ;   in Loop: Header=BB0_73 Depth=1
.Ltmp34:
	.loc	1 51 34                         ; attention_aot.py:51:34 @[ attention_aot.py:258:12 ]
	v_lshl_add_u64 v[50:51], v[98:99], 0, s[72:73]
	.loc	1 56 28                         ; attention_aot.py:56:28 @[ attention_aot.py:258:12 ]
	global_load_ushort v211, v[50:51], off
.LBB0_72:                               ;   in Loop: Header=BB0_73 Depth=1
	.loc	1 51 34                         ; attention_aot.py:51:34 @[ attention_aot.py:258:12 ]
	s_nop 0
	scratch_load_dword v50, off, off        ; 4-byte Folded Reload
	.loc	1 54 22                         ; attention_aot.py:54:22 @[ attention_aot.py:258:12 ]
	s_waitcnt vmcnt(1)
	v_perm_b32 v34, v36, v34, s79
	v_perm_b32 v35, v38, v35, s79
	;; [unrolled: 1-line block ×4, first 2 shown]
	s_waitcnt lgkmcnt(0)
	s_barrier
	ds_write2_b64 v181, v[34:35], v[42:43] offset1:16
	v_perm_b32 v34, v40, v37, s79
	v_perm_b32 v35, v41, v39, s79
	;; [unrolled: 1-line block ×4, first 2 shown]
	ds_write2_b64 v182, v[34:35], v[36:37] offset1:16
	s_waitcnt lgkmcnt(0)
	s_barrier
	.loc	1 50 33                         ; attention_aot.py:50:33 @[ attention_aot.py:258:12 ]
	v_lshl_add_u64 v[98:99], v[98:99], 0, s[74:75]
	v_lshl_add_u64 v[100:101], v[100:101], 0, s[74:75]
	;; [unrolled: 1-line block ×32, first 2 shown]
	.loc	1 51 34                         ; attention_aot.py:51:34 @[ attention_aot.py:258:12 ]
	s_waitcnt vmcnt(0)
	v_add_u32_e32 v50, s78, v50
	v_add_u32_e32 v51, 1, v50
	;; [unrolled: 1-line block ×32, first 2 shown]
	.loc	1 51 44 is_stmt 0               ; attention_aot.py:51:44 @[ attention_aot.py:258:12 ]
	v_cmp_gt_i32_e64 s[58:59], s90, v50
	.loc	1 54 22 is_stmt 1               ; attention_aot.py:54:22 @[ attention_aot.py:258:12 ]
	v_add_u32_e32 v50, 0x2000, v184
	ds_read2_b64 v[228:231], v50 offset1:16
	v_add_u32_e32 v50, 0x2000, v183
	ds_read2_b64 v[232:235], v50 offset1:16
	;; [unrolled: 2-line block ×7, first 2 shown]
	v_add_u32_e32 v50, 0x2000, v189
	.loc	1 51 44                         ; attention_aot.py:51:44 @[ attention_aot.py:258:12 ]
	v_cmp_gt_i32_e64 s[60:61], s90, v51
	v_cmp_gt_i32_e64 s[62:63], s90, v52
	;; [unrolled: 1-line block ×28, first 2 shown]
	v_cmp_gt_i32_e32 vcc, s90, v221
	.loc	1 54 22                         ; attention_aot.py:54:22 @[ attention_aot.py:258:12 ]
	ds_read2_b64 v[34:37], v183 offset1:16
	ds_read2_b64 v[38:41], v184 offset1:16
	ds_read2_b64 v[42:45], v185 offset1:16
	ds_read2_b64 v[46:49], v186 offset1:16
	ds_read2_b64 v[212:215], v187 offset1:16
	ds_read2_b64 v[216:219], v188 offset1:16
	ds_read2_b64 v[220:223], v189 offset1:16
	ds_read2_b64 v[224:227], v190 offset1:16
	ds_read2_b64 v[174:177], v50 offset1:16
	.loc	1 58 27                         ; attention_aot.py:58:27 @[ attention_aot.py:258:12 ]
	s_waitcnt lgkmcnt(8)
	v_mfma_f32_32x32x8_f16 v[50:65], v[34:35], v[66:67], 0
	.loc	1 51 44                         ; attention_aot.py:51:44 @[ attention_aot.py:258:12 ]
	v_cmp_gt_i32_e64 s[26:27], s90, v205
	v_cmp_gt_i32_e64 s[24:25], s90, v206
	.loc	1 95 20                         ; attention_aot.py:95:20 @[ attention_aot.py:258:12 ]
	s_waitcnt lgkmcnt(0)
	s_barrier
	.loc	1 50 33                         ; attention_aot.py:50:33 @[ attention_aot.py:258:12 ]
	s_add_i32 s78, s78, 64
	s_cmp_lt_i32 s78, s90
	.loc	1 58 27                         ; attention_aot.py:58:27 @[ attention_aot.py:258:12 ]
	v_mfma_f32_32x32x8_f16 v[50:65], v[38:39], v[70:71], v[50:65]
	v_mfma_f32_32x32x8_f16 v[50:65], v[42:43], v[74:75], v[50:65]
	;; [unrolled: 1-line block ×30, first 2 shown]
	.loc	1 60 49                         ; attention_aot.py:60:49 @[ attention_aot.py:258:12 ]
	s_nop 9
	v_cndmask_b32_e64 v50, v204, v50, s[58:59]
	v_cndmask_b32_e64 v51, v204, v51, s[60:61]
	v_cndmask_b32_e64 v52, v204, v52, s[62:63]
	v_cndmask_b32_e64 v53, v204, v53, s[64:65]
	.loc	1 83 18                         ; attention_aot.py:83:18 @[ attention_aot.py:258:12 ]
	v_mul_f32_e32 v174, v178, v50
	v_mul_f32_e32 v175, v178, v51
	.loc	1 60 49                         ; attention_aot.py:60:49 @[ attention_aot.py:258:12 ]
	v_cndmask_b32_e64 v54, v204, v54, s[66:67]
	.loc	1 58 27                         ; attention_aot.py:58:27 @[ attention_aot.py:258:12 ]
	v_mfma_f32_32x32x8_f16 v[34:49], v[176:177], v[96:97], v[34:49]
	.loc	1 60 49                         ; attention_aot.py:60:49 @[ attention_aot.py:258:12 ]
	v_cndmask_b32_e64 v55, v204, v55, s[68:69]
	.loc	1 83 18                         ; attention_aot.py:83:18 @[ attention_aot.py:258:12 ]
	v_mul_f32_e32 v176, v178, v52
	v_mul_f32_e32 v177, v178, v53
.Ltmp35:
	.file	2 "/root/.local/lib/python3.13/site-packages/triton/language" "standard.py"
	.loc	2 170 27                        ; standard.py:170:27 @[ standard.py:191:40 @[ attention_aot.py:86:46 @[ attention_aot.py:258:12 ] ] ]
	v_max_f32_e32 v174, v174, v175
.Ltmp36:
	.loc	1 60 49                         ; attention_aot.py:60:49 @[ attention_aot.py:258:12 ]
	v_cndmask_b32_e64 v56, v204, v56, s[56:57]
	v_cndmask_b32_e64 v57, v204, v57, s[54:55]
	.loc	1 83 18                         ; attention_aot.py:83:18 @[ attention_aot.py:258:12 ]
	v_mul_f32_e32 v205, v178, v54
	v_mul_f32_e32 v206, v178, v55
.Ltmp37:
	.loc	2 170 27                        ; standard.py:170:27 @[ standard.py:191:40 @[ attention_aot.py:86:46 @[ attention_aot.py:258:12 ] ] ]
	v_max3_f32 v174, v174, v176, v177
.Ltmp38:
	.loc	1 60 49                         ; attention_aot.py:60:49 @[ attention_aot.py:258:12 ]
	v_cndmask_b32_e64 v58, v204, v58, s[52:53]
	v_cndmask_b32_e64 v59, v204, v59, s[50:51]
	.loc	1 83 18                         ; attention_aot.py:83:18 @[ attention_aot.py:258:12 ]
	v_mul_f32_e32 v212, v178, v56
	v_mul_f32_e32 v213, v178, v57
.Ltmp39:
	.loc	2 170 27                        ; standard.py:170:27 @[ standard.py:191:40 @[ attention_aot.py:86:46 @[ attention_aot.py:258:12 ] ] ]
	v_max3_f32 v174, v174, v205, v206
.Ltmp40:
	.loc	1 60 49                         ; attention_aot.py:60:49 @[ attention_aot.py:258:12 ]
	v_cndmask_b32_e64 v60, v204, v60, s[48:49]
	v_cndmask_b32_e64 v61, v204, v61, s[46:47]
	.loc	1 83 18                         ; attention_aot.py:83:18 @[ attention_aot.py:258:12 ]
	v_mul_f32_e32 v214, v178, v58
	v_mul_f32_e32 v215, v178, v59
.Ltmp41:
	.loc	2 170 27                        ; standard.py:170:27 @[ standard.py:191:40 @[ attention_aot.py:86:46 @[ attention_aot.py:258:12 ] ] ]
	v_max3_f32 v174, v174, v212, v213
.Ltmp42:
	.loc	1 60 49                         ; attention_aot.py:60:49 @[ attention_aot.py:258:12 ]
	v_cndmask_b32_e64 v62, v204, v62, s[44:45]
	v_cndmask_b32_e64 v63, v204, v63, s[42:43]
	.loc	1 83 18                         ; attention_aot.py:83:18 @[ attention_aot.py:258:12 ]
	v_mul_f32_e32 v216, v178, v60
	v_mul_f32_e32 v217, v178, v61
.Ltmp43:
	.loc	2 170 27                        ; standard.py:170:27 @[ standard.py:191:40 @[ attention_aot.py:86:46 @[ attention_aot.py:258:12 ] ] ]
	v_max3_f32 v174, v174, v214, v215
.Ltmp44:
	.loc	1 60 49                         ; attention_aot.py:60:49 @[ attention_aot.py:258:12 ]
	v_cndmask_b32_e64 v64, v204, v64, s[40:41]
	v_cndmask_b32_e64 v65, v204, v65, s[38:39]
	.loc	1 83 18                         ; attention_aot.py:83:18 @[ attention_aot.py:258:12 ]
	v_mul_f32_e32 v218, v178, v62
	v_mul_f32_e32 v219, v178, v63
.Ltmp45:
	.loc	2 170 27                        ; standard.py:170:27 @[ standard.py:191:40 @[ attention_aot.py:86:46 @[ attention_aot.py:258:12 ] ] ]
	v_max3_f32 v174, v174, v216, v217
.Ltmp46:
	.loc	1 60 49                         ; attention_aot.py:60:49 @[ attention_aot.py:258:12 ]
	v_cndmask_b32_e64 v34, v204, v34, s[36:37]
	v_cndmask_b32_e64 v35, v204, v35, s[34:35]
	.loc	1 83 18                         ; attention_aot.py:83:18 @[ attention_aot.py:258:12 ]
	v_mul_f32_e32 v220, v178, v64
	v_mul_f32_e32 v221, v178, v65
.Ltmp47:
	.loc	2 170 27                        ; standard.py:170:27 @[ standard.py:191:40 @[ attention_aot.py:86:46 @[ attention_aot.py:258:12 ] ] ]
	v_max3_f32 v174, v174, v218, v219
.Ltmp48:
	.loc	1 60 49                         ; attention_aot.py:60:49 @[ attention_aot.py:258:12 ]
	v_cndmask_b32_e64 v36, v204, v36, s[30:31]
	v_cndmask_b32_e64 v37, v204, v37, s[28:29]
	.loc	1 83 18                         ; attention_aot.py:83:18 @[ attention_aot.py:258:12 ]
	v_mul_f32_e32 v222, v178, v34
	v_mul_f32_e32 v223, v178, v35
.Ltmp49:
	.loc	2 170 27                        ; standard.py:170:27 @[ standard.py:191:40 @[ attention_aot.py:86:46 @[ attention_aot.py:258:12 ] ] ]
	v_max3_f32 v174, v174, v220, v221
.Ltmp50:
	.loc	1 60 49                         ; attention_aot.py:60:49 @[ attention_aot.py:258:12 ]
	v_cndmask_b32_e64 v38, v204, v38, s[26:27]
	v_cndmask_b32_e64 v39, v204, v39, s[24:25]
	.loc	1 83 18                         ; attention_aot.py:83:18 @[ attention_aot.py:258:12 ]
	v_mul_f32_e32 v224, v178, v36
	v_mul_f32_e32 v225, v178, v37
.Ltmp51:
	.loc	2 170 27                        ; standard.py:170:27 @[ standard.py:191:40 @[ attention_aot.py:86:46 @[ attention_aot.py:258:12 ] ] ]
	v_max3_f32 v174, v174, v222, v223
.Ltmp52:
	.loc	1 60 49                         ; attention_aot.py:60:49 @[ attention_aot.py:258:12 ]
	v_cndmask_b32_e64 v40, v204, v40, s[22:23]
	v_cndmask_b32_e64 v41, v204, v41, s[20:21]
	.loc	1 83 18                         ; attention_aot.py:83:18 @[ attention_aot.py:258:12 ]
	v_mul_f32_e32 v226, v178, v38
	v_mul_f32_e32 v227, v178, v39
.Ltmp53:
	.loc	2 170 27                        ; standard.py:170:27 @[ standard.py:191:40 @[ attention_aot.py:86:46 @[ attention_aot.py:258:12 ] ] ]
	v_max3_f32 v174, v174, v224, v225
.Ltmp54:
	.loc	1 60 49                         ; attention_aot.py:60:49 @[ attention_aot.py:258:12 ]
	v_cndmask_b32_e64 v42, v204, v42, s[18:19]
	v_cndmask_b32_e64 v43, v204, v43, s[70:71]
	.loc	1 83 18                         ; attention_aot.py:83:18 @[ attention_aot.py:258:12 ]
	v_mul_f32_e32 v228, v178, v40
	v_mul_f32_e32 v229, v178, v41
.Ltmp55:
	.loc	2 170 27                        ; standard.py:170:27 @[ standard.py:191:40 @[ attention_aot.py:86:46 @[ attention_aot.py:258:12 ] ] ]
	v_max3_f32 v174, v174, v226, v227
.Ltmp56:
	.loc	1 60 49                         ; attention_aot.py:60:49 @[ attention_aot.py:258:12 ]
	v_cndmask_b32_e64 v44, v204, v44, s[10:11]
	v_cndmask_b32_e64 v45, v204, v45, s[8:9]
	.loc	1 83 18                         ; attention_aot.py:83:18 @[ attention_aot.py:258:12 ]
	v_mul_f32_e32 v230, v178, v42
	v_mul_f32_e32 v231, v178, v43
.Ltmp57:
	.loc	2 170 27                        ; standard.py:170:27 @[ standard.py:191:40 @[ attention_aot.py:86:46 @[ attention_aot.py:258:12 ] ] ]
	v_max3_f32 v174, v174, v228, v229
.Ltmp58:
	.loc	1 60 49                         ; attention_aot.py:60:49 @[ attention_aot.py:258:12 ]
	v_cndmask_b32_e64 v46, v204, v46, s[6:7]
	v_cndmask_b32_e64 v47, v204, v47, s[4:5]
	.loc	1 83 18                         ; attention_aot.py:83:18 @[ attention_aot.py:258:12 ]
	v_mul_f32_e32 v232, v178, v44
	v_mul_f32_e32 v233, v178, v45
.Ltmp59:
	.loc	2 170 27                        ; standard.py:170:27 @[ standard.py:191:40 @[ attention_aot.py:86:46 @[ attention_aot.py:258:12 ] ] ]
	v_max3_f32 v174, v174, v230, v231
.Ltmp60:
	.loc	1 60 49                         ; attention_aot.py:60:49 @[ attention_aot.py:258:12 ]
	v_cndmask_b32_e64 v48, v204, v48, s[2:3]
	v_cndmask_b32_e32 v49, v204, v49, vcc
	.loc	1 83 18                         ; attention_aot.py:83:18 @[ attention_aot.py:258:12 ]
	v_mul_f32_e32 v234, v178, v46
	v_mul_f32_e32 v235, v178, v47
.Ltmp61:
	.loc	2 170 27                        ; standard.py:170:27 @[ standard.py:191:40 @[ attention_aot.py:86:46 @[ attention_aot.py:258:12 ] ] ]
	v_max3_f32 v174, v174, v232, v233
.Ltmp62:
	.loc	1 83 18                         ; attention_aot.py:83:18 @[ attention_aot.py:258:12 ]
	v_mul_f32_e32 v236, v178, v48
	v_mul_f32_e32 v237, v178, v49
.Ltmp63:
	.loc	2 170 27                        ; standard.py:170:27 @[ standard.py:191:40 @[ attention_aot.py:86:46 @[ attention_aot.py:258:12 ] ] ]
	v_max3_f32 v174, v174, v234, v235
	v_max3_f32 v174, v174, v236, v237
.Ltmp64:
	.loc	2 191 40                        ; standard.py:191:40 @[ attention_aot.py:86:46 @[ attention_aot.py:258:12 ] ]
	ds_bpermute_b32 v175, v180, v174
.Ltmp65:
	.loc	1 86 35                         ; attention_aot.py:86:35 @[ attention_aot.py:258:12 ]
	s_waitcnt lgkmcnt(0)
	v_max3_f32 v205, v160, v174, v175
	.loc	1 87 22                         ; attention_aot.py:87:22 @[ attention_aot.py:258:12 ]
	v_fma_f32 v50, v178, v50, -v205
	v_fma_f32 v51, v178, v51, -v205
	;; [unrolled: 1-line block ×3, first 2 shown]
	.loc	1 89 25                         ; attention_aot.py:89:25 @[ attention_aot.py:258:12 ]
	v_exp_f32_e32 v50, v50
	v_exp_f32_e32 v51, v51
	.loc	1 87 22                         ; attention_aot.py:87:22 @[ attention_aot.py:258:12 ]
	v_fma_f32 v53, v178, v53, -v205
	.loc	1 89 25                         ; attention_aot.py:89:25 @[ attention_aot.py:258:12 ]
	v_exp_f32_e32 v52, v52
	.loc	1 87 22                         ; attention_aot.py:87:22 @[ attention_aot.py:258:12 ]
	v_fma_f32 v54, v178, v54, -v205
	.loc	1 89 25                         ; attention_aot.py:89:25 @[ attention_aot.py:258:12 ]
	v_exp_f32_e32 v53, v53
	.loc	1 87 22                         ; attention_aot.py:87:22 @[ attention_aot.py:258:12 ]
	v_fma_f32 v55, v178, v55, -v205
	.loc	1 89 25                         ; attention_aot.py:89:25 @[ attention_aot.py:258:12 ]
	v_exp_f32_e32 v54, v54
	.loc	1 87 22                         ; attention_aot.py:87:22 @[ attention_aot.py:258:12 ]
	v_fma_f32 v56, v178, v56, -v205
	.loc	1 89 25                         ; attention_aot.py:89:25 @[ attention_aot.py:258:12 ]
	v_exp_f32_e32 v55, v55
.Ltmp66:
	.loc	2 263 15                        ; standard.py:263:15 @[ standard.py:293:36 @[ attention_aot.py:90:25 @[ attention_aot.py:258:12 ] ] ]
	v_add_f32_e32 v174, v50, v51
.Ltmp67:
	.loc	1 87 22                         ; attention_aot.py:87:22 @[ attention_aot.py:258:12 ]
	v_fma_f32 v57, v178, v57, -v205
	.loc	1 89 25                         ; attention_aot.py:89:25 @[ attention_aot.py:258:12 ]
	v_exp_f32_e32 v56, v56
.Ltmp68:
	.loc	2 263 15                        ; standard.py:263:15 @[ standard.py:293:36 @[ attention_aot.py:90:25 @[ attention_aot.py:258:12 ] ] ]
	v_add_f32_e32 v174, v52, v174
.Ltmp69:
	.loc	1 87 22                         ; attention_aot.py:87:22 @[ attention_aot.py:258:12 ]
	v_fma_f32 v58, v178, v58, -v205
	.loc	1 89 25                         ; attention_aot.py:89:25 @[ attention_aot.py:258:12 ]
	v_exp_f32_e32 v57, v57
.Ltmp70:
	.loc	2 263 15                        ; standard.py:263:15 @[ standard.py:293:36 @[ attention_aot.py:90:25 @[ attention_aot.py:258:12 ] ] ]
	v_add_f32_e32 v174, v53, v174
.Ltmp71:
	.loc	1 87 22                         ; attention_aot.py:87:22 @[ attention_aot.py:258:12 ]
	v_fma_f32 v59, v178, v59, -v205
	.loc	1 89 25                         ; attention_aot.py:89:25 @[ attention_aot.py:258:12 ]
	v_exp_f32_e32 v58, v58
.Ltmp72:
	.loc	2 263 15                        ; standard.py:263:15 @[ standard.py:293:36 @[ attention_aot.py:90:25 @[ attention_aot.py:258:12 ] ] ]
	v_add_f32_e32 v174, v54, v174
.Ltmp73:
	.loc	1 87 22                         ; attention_aot.py:87:22 @[ attention_aot.py:258:12 ]
	v_fma_f32 v60, v178, v60, -v205
	.loc	1 89 25                         ; attention_aot.py:89:25 @[ attention_aot.py:258:12 ]
	v_exp_f32_e32 v59, v59
.Ltmp74:
	.loc	2 263 15                        ; standard.py:263:15 @[ standard.py:293:36 @[ attention_aot.py:90:25 @[ attention_aot.py:258:12 ] ] ]
	v_add_f32_e32 v174, v55, v174
.Ltmp75:
	.loc	1 87 22                         ; attention_aot.py:87:22 @[ attention_aot.py:258:12 ]
	v_fma_f32 v61, v178, v61, -v205
	.loc	1 89 25                         ; attention_aot.py:89:25 @[ attention_aot.py:258:12 ]
	v_exp_f32_e32 v60, v60
.Ltmp76:
	.loc	2 263 15                        ; standard.py:263:15 @[ standard.py:293:36 @[ attention_aot.py:90:25 @[ attention_aot.py:258:12 ] ] ]
	v_add_f32_e32 v174, v56, v174
.Ltmp77:
	.loc	1 87 22                         ; attention_aot.py:87:22 @[ attention_aot.py:258:12 ]
	v_fma_f32 v62, v178, v62, -v205
	.loc	1 89 25                         ; attention_aot.py:89:25 @[ attention_aot.py:258:12 ]
	v_exp_f32_e32 v61, v61
.Ltmp78:
	.loc	2 263 15                        ; standard.py:263:15 @[ standard.py:293:36 @[ attention_aot.py:90:25 @[ attention_aot.py:258:12 ] ] ]
	v_add_f32_e32 v174, v57, v174
.Ltmp79:
	.loc	1 87 22                         ; attention_aot.py:87:22 @[ attention_aot.py:258:12 ]
	v_fma_f32 v63, v178, v63, -v205
	.loc	1 89 25                         ; attention_aot.py:89:25 @[ attention_aot.py:258:12 ]
	v_exp_f32_e32 v62, v62
.Ltmp80:
	.loc	2 263 15                        ; standard.py:263:15 @[ standard.py:293:36 @[ attention_aot.py:90:25 @[ attention_aot.py:258:12 ] ] ]
	v_add_f32_e32 v174, v58, v174
.Ltmp81:
	.loc	1 87 22                         ; attention_aot.py:87:22 @[ attention_aot.py:258:12 ]
	v_fma_f32 v64, v178, v64, -v205
	.loc	1 89 25                         ; attention_aot.py:89:25 @[ attention_aot.py:258:12 ]
	v_exp_f32_e32 v63, v63
.Ltmp82:
	.loc	2 263 15                        ; standard.py:263:15 @[ standard.py:293:36 @[ attention_aot.py:90:25 @[ attention_aot.py:258:12 ] ] ]
	v_add_f32_e32 v174, v59, v174
.Ltmp83:
	.loc	1 87 22                         ; attention_aot.py:87:22 @[ attention_aot.py:258:12 ]
	v_fma_f32 v65, v178, v65, -v205
	.loc	1 89 25                         ; attention_aot.py:89:25 @[ attention_aot.py:258:12 ]
	v_exp_f32_e32 v64, v64
.Ltmp84:
	.loc	2 263 15                        ; standard.py:263:15 @[ standard.py:293:36 @[ attention_aot.py:90:25 @[ attention_aot.py:258:12 ] ] ]
	v_add_f32_e32 v174, v60, v174
.Ltmp85:
	.loc	1 87 22                         ; attention_aot.py:87:22 @[ attention_aot.py:258:12 ]
	v_fma_f32 v34, v178, v34, -v205
	.loc	1 89 25                         ; attention_aot.py:89:25 @[ attention_aot.py:258:12 ]
	v_exp_f32_e32 v65, v65
.Ltmp86:
	.loc	2 263 15                        ; standard.py:263:15 @[ standard.py:293:36 @[ attention_aot.py:90:25 @[ attention_aot.py:258:12 ] ] ]
	v_add_f32_e32 v174, v61, v174
.Ltmp87:
	.loc	1 87 22                         ; attention_aot.py:87:22 @[ attention_aot.py:258:12 ]
	v_fma_f32 v35, v178, v35, -v205
	.loc	1 89 25                         ; attention_aot.py:89:25 @[ attention_aot.py:258:12 ]
	v_exp_f32_e32 v34, v34
.Ltmp88:
	.loc	2 263 15                        ; standard.py:263:15 @[ standard.py:293:36 @[ attention_aot.py:90:25 @[ attention_aot.py:258:12 ] ] ]
	v_add_f32_e32 v174, v62, v174
.Ltmp89:
	.loc	1 87 22                         ; attention_aot.py:87:22 @[ attention_aot.py:258:12 ]
	v_fma_f32 v36, v178, v36, -v205
	.loc	1 89 25                         ; attention_aot.py:89:25 @[ attention_aot.py:258:12 ]
	v_exp_f32_e32 v35, v35
.Ltmp90:
	.loc	2 263 15                        ; standard.py:263:15 @[ standard.py:293:36 @[ attention_aot.py:90:25 @[ attention_aot.py:258:12 ] ] ]
	v_add_f32_e32 v174, v63, v174
.Ltmp91:
	.loc	1 87 22                         ; attention_aot.py:87:22 @[ attention_aot.py:258:12 ]
	v_fma_f32 v37, v178, v37, -v205
	.loc	1 89 25                         ; attention_aot.py:89:25 @[ attention_aot.py:258:12 ]
	v_exp_f32_e32 v36, v36
.Ltmp92:
	.loc	2 263 15                        ; standard.py:263:15 @[ standard.py:293:36 @[ attention_aot.py:90:25 @[ attention_aot.py:258:12 ] ] ]
	v_add_f32_e32 v174, v64, v174
.Ltmp93:
	.loc	1 87 22                         ; attention_aot.py:87:22 @[ attention_aot.py:258:12 ]
	v_fma_f32 v38, v178, v38, -v205
	.loc	1 89 25                         ; attention_aot.py:89:25 @[ attention_aot.py:258:12 ]
	v_exp_f32_e32 v37, v37
.Ltmp94:
	.loc	2 263 15                        ; standard.py:263:15 @[ standard.py:293:36 @[ attention_aot.py:90:25 @[ attention_aot.py:258:12 ] ] ]
	v_add_f32_e32 v174, v65, v174
.Ltmp95:
	.loc	1 87 22                         ; attention_aot.py:87:22 @[ attention_aot.py:258:12 ]
	v_fma_f32 v39, v178, v39, -v205
	.loc	1 89 25                         ; attention_aot.py:89:25 @[ attention_aot.py:258:12 ]
	v_exp_f32_e32 v38, v38
.Ltmp96:
	.loc	2 263 15                        ; standard.py:263:15 @[ standard.py:293:36 @[ attention_aot.py:90:25 @[ attention_aot.py:258:12 ] ] ]
	v_add_f32_e32 v174, v34, v174
.Ltmp97:
	.loc	1 87 22                         ; attention_aot.py:87:22 @[ attention_aot.py:258:12 ]
	v_fma_f32 v40, v178, v40, -v205
	.loc	1 89 25                         ; attention_aot.py:89:25 @[ attention_aot.py:258:12 ]
	v_exp_f32_e32 v39, v39
.Ltmp98:
	.loc	2 263 15                        ; standard.py:263:15 @[ standard.py:293:36 @[ attention_aot.py:90:25 @[ attention_aot.py:258:12 ] ] ]
	v_add_f32_e32 v174, v35, v174
.Ltmp99:
	.loc	1 87 22                         ; attention_aot.py:87:22 @[ attention_aot.py:258:12 ]
	v_fma_f32 v41, v178, v41, -v205
	.loc	1 89 25                         ; attention_aot.py:89:25 @[ attention_aot.py:258:12 ]
	v_exp_f32_e32 v40, v40
.Ltmp100:
	.loc	2 263 15                        ; standard.py:263:15 @[ standard.py:293:36 @[ attention_aot.py:90:25 @[ attention_aot.py:258:12 ] ] ]
	v_add_f32_e32 v174, v36, v174
.Ltmp101:
	.loc	1 87 22                         ; attention_aot.py:87:22 @[ attention_aot.py:258:12 ]
	v_fma_f32 v42, v178, v42, -v205
	.loc	1 89 25                         ; attention_aot.py:89:25 @[ attention_aot.py:258:12 ]
	v_exp_f32_e32 v41, v41
.Ltmp102:
	.loc	2 263 15                        ; standard.py:263:15 @[ standard.py:293:36 @[ attention_aot.py:90:25 @[ attention_aot.py:258:12 ] ] ]
	v_add_f32_e32 v174, v37, v174
.Ltmp103:
	.loc	1 87 22                         ; attention_aot.py:87:22 @[ attention_aot.py:258:12 ]
	v_fma_f32 v43, v178, v43, -v205
	.loc	1 89 25                         ; attention_aot.py:89:25 @[ attention_aot.py:258:12 ]
	v_exp_f32_e32 v42, v42
.Ltmp104:
	.loc	2 263 15                        ; standard.py:263:15 @[ standard.py:293:36 @[ attention_aot.py:90:25 @[ attention_aot.py:258:12 ] ] ]
	v_add_f32_e32 v174, v38, v174
.Ltmp105:
	.loc	1 87 22                         ; attention_aot.py:87:22 @[ attention_aot.py:258:12 ]
	v_fma_f32 v44, v178, v44, -v205
	.loc	1 89 25                         ; attention_aot.py:89:25 @[ attention_aot.py:258:12 ]
	v_exp_f32_e32 v43, v43
.Ltmp106:
	.loc	2 263 15                        ; standard.py:263:15 @[ standard.py:293:36 @[ attention_aot.py:90:25 @[ attention_aot.py:258:12 ] ] ]
	v_add_f32_e32 v174, v39, v174
.Ltmp107:
	.loc	1 87 22                         ; attention_aot.py:87:22 @[ attention_aot.py:258:12 ]
	v_fma_f32 v45, v178, v45, -v205
	.loc	1 89 25                         ; attention_aot.py:89:25 @[ attention_aot.py:258:12 ]
	v_exp_f32_e32 v44, v44
.Ltmp108:
	.loc	2 263 15                        ; standard.py:263:15 @[ standard.py:293:36 @[ attention_aot.py:90:25 @[ attention_aot.py:258:12 ] ] ]
	v_add_f32_e32 v174, v40, v174
.Ltmp109:
	.loc	1 87 22                         ; attention_aot.py:87:22 @[ attention_aot.py:258:12 ]
	v_fma_f32 v46, v178, v46, -v205
	.loc	1 89 25                         ; attention_aot.py:89:25 @[ attention_aot.py:258:12 ]
	v_exp_f32_e32 v45, v45
.Ltmp110:
	.loc	2 263 15                        ; standard.py:263:15 @[ standard.py:293:36 @[ attention_aot.py:90:25 @[ attention_aot.py:258:12 ] ] ]
	v_add_f32_e32 v174, v41, v174
.Ltmp111:
	.loc	1 87 22                         ; attention_aot.py:87:22 @[ attention_aot.py:258:12 ]
	v_fma_f32 v47, v178, v47, -v205
	.loc	1 89 25                         ; attention_aot.py:89:25 @[ attention_aot.py:258:12 ]
	v_exp_f32_e32 v46, v46
.Ltmp112:
	.loc	2 263 15                        ; standard.py:263:15 @[ standard.py:293:36 @[ attention_aot.py:90:25 @[ attention_aot.py:258:12 ] ] ]
	v_add_f32_e32 v174, v42, v174
.Ltmp113:
	.loc	1 87 22                         ; attention_aot.py:87:22 @[ attention_aot.py:258:12 ]
	v_fma_f32 v48, v178, v48, -v205
	.loc	1 89 25                         ; attention_aot.py:89:25 @[ attention_aot.py:258:12 ]
	v_exp_f32_e32 v47, v47
.Ltmp114:
	.loc	2 263 15                        ; standard.py:263:15 @[ standard.py:293:36 @[ attention_aot.py:90:25 @[ attention_aot.py:258:12 ] ] ]
	v_add_f32_e32 v174, v43, v174
.Ltmp115:
	.loc	1 87 22                         ; attention_aot.py:87:22 @[ attention_aot.py:258:12 ]
	v_fma_f32 v49, v178, v49, -v205
	.loc	1 89 25                         ; attention_aot.py:89:25 @[ attention_aot.py:258:12 ]
	v_exp_f32_e32 v48, v48
.Ltmp116:
	.loc	2 263 15                        ; standard.py:263:15 @[ standard.py:293:36 @[ attention_aot.py:90:25 @[ attention_aot.py:258:12 ] ] ]
	v_add_f32_e32 v174, v44, v174
.Ltmp117:
	.loc	1 89 25                         ; attention_aot.py:89:25 @[ attention_aot.py:258:12 ]
	v_exp_f32_e32 v49, v49
.Ltmp118:
	.loc	2 263 15                        ; standard.py:263:15 @[ standard.py:293:36 @[ attention_aot.py:90:25 @[ attention_aot.py:258:12 ] ] ]
	v_add_f32_e32 v174, v45, v174
	v_add_f32_e32 v174, v46, v174
	;; [unrolled: 1-line block ×5, first 2 shown]
.Ltmp119:
	.loc	2 293 36                        ; standard.py:293:36 @[ attention_aot.py:90:25 @[ attention_aot.py:258:12 ] ]
	ds_bpermute_b32 v175, v180, v174
.Ltmp120:
	.loc	1 92 35                         ; attention_aot.py:92:35 @[ attention_aot.py:258:12 ]
	v_sub_f32_e32 v160, v160, v205
	.loc	1 92 29 is_stmt 0               ; attention_aot.py:92:29 @[ attention_aot.py:258:12 ]
	v_exp_f32_e32 v160, v160
	.loc	1 102 21 is_stmt 1              ; attention_aot.py:102:21 @[ attention_aot.py:258:12 ]
	v_cvt_f16_f32_e32 v50, v50
	v_cvt_f16_f32_e32 v51, v51
.Ltmp121:
	.loc	2 263 15                        ; standard.py:263:15 @[ standard.py:293:36 @[ attention_aot.py:90:25 @[ attention_aot.py:258:12 ] ] ]
	s_waitcnt lgkmcnt(0)
	v_add_f32_e32 v206, v174, v175
.Ltmp122:
	.loc	1 93 28                         ; attention_aot.py:93:28 @[ attention_aot.py:258:12 ]
	v_fmac_f32_e32 v206, v162, v160
	.loc	1 95 20                         ; attention_aot.py:95:20 @[ attention_aot.py:258:12 ]
	v_add_u32_e32 v162, s93, v203
	ds_write_b32 v162, v160
	v_add_u32_e32 v160, s89, v203
	.loc	1 102 21                        ; attention_aot.py:102:21 @[ attention_aot.py:258:12 ]
	v_cvt_f16_f32_e32 v52, v52
	.loc	1 95 20                         ; attention_aot.py:95:20 @[ attention_aot.py:258:12 ]
	s_waitcnt lgkmcnt(0)
	s_barrier
	ds_read_b32 v160, v160
	.loc	1 102 21                        ; attention_aot.py:102:21 @[ attention_aot.py:258:12 ]
	v_cvt_f16_f32_e32 v53, v53
	v_cvt_f16_f32_e32 v34, v34
	v_add_u32_e32 v162, s91, v179
	v_cvt_f16_f32_e32 v54, v54
	v_cvt_f16_f32_e32 v55, v55
	;; [unrolled: 1-line block ×27, first 2 shown]
	s_waitcnt lgkmcnt(0)
	s_barrier
	ds_write_b16 v162, v50
	ds_write_b16 v162, v51 offset:256
	ds_write_b16 v162, v52 offset:512
	;; [unrolled: 1-line block ×31, first 2 shown]
	v_add_u32_e32 v34, s94, v179
	s_waitcnt lgkmcnt(0)
	s_barrier
	ds_read_u16 v162, v34
	ds_read_u16 v174, v34 offset:256
	ds_read_u16 v175, v34 offset:512
	;; [unrolled: 1-line block ×31, first 2 shown]
	.loc	1 56 28                         ; attention_aot.py:56:28 @[ attention_aot.py:258:12 ]
	v_perm_b32 v34, v164, v163, s79
	v_perm_b32 v35, v166, v165, s79
	s_waitcnt lgkmcnt(0)
	s_barrier
	ds_write_b64 v191, v[34:35]
	v_perm_b32 v34, v168, v167, s79
	v_perm_b32 v35, v170, v169, s79
	ds_write_b64 v192, v[34:35]
	v_perm_b32 v34, v172, v171, s79
	v_perm_b32 v35, v207, v173, s79
	;; [unrolled: 3-line block ×3, first 2 shown]
	.loc	1 104 31                        ; attention_aot.py:104:31 @[ attention_aot.py:258:12 ]
	v_perm_b32 v175, v176, v175, s79
	v_perm_b32 v174, v174, v162, s79
	v_pk_mul_f32 v[32:33], v[32:33], v[160:161] op_sel_hi:[1,0]
	v_pk_mul_f32 v[30:31], v[30:31], v[160:161] op_sel_hi:[1,0]
	;; [unrolled: 1-line block ×16, first 2 shown]
	.loc	1 56 28                         ; attention_aot.py:56:28 @[ attention_aot.py:258:12 ]
	ds_write_b64 v194, v[34:35]
	s_waitcnt lgkmcnt(0)
	s_barrier
	ds_read2st64_b64 v[54:57], v195 offset1:16
	ds_read2st64_b64 v[50:53], v196 offset1:16
	;; [unrolled: 1-line block ×8, first 2 shown]
	.loc	1 104 31                        ; attention_aot.py:104:31 @[ attention_aot.py:258:12 ]
	s_waitcnt lgkmcnt(7)
	v_mfma_f32_32x32x8_f16 v[18:33], v[54:55], v[174:175], v[18:33]
	v_perm_b32 v177, v214, v177, s79
	v_perm_b32 v176, v213, v212, s79
	;; [unrolled: 1-line block ×7, first 2 shown]
	s_waitcnt lgkmcnt(5)
	v_mfma_f32_32x32x8_f16 v[2:17], v[64:65], v[174:175], v[2:17]
	v_perm_b32 v168, v224, v223, s79
	v_perm_b32 v167, v230, v229, s79
	;; [unrolled: 1-line block ×7, first 2 shown]
	v_mfma_f32_32x32x8_f16 v[18:33], v[50:51], v[176:177], v[18:33]
	v_mov_b32_e32 v160, v205
	s_waitcnt lgkmcnt(4)
	v_mfma_f32_32x32x8_f16 v[2:17], v[60:61], v[176:177], v[2:17]
	v_mfma_f32_32x32x8_f16 v[18:33], v[62:63], v[172:173], v[18:33]
	;; [unrolled: 1-line block ×5, first 2 shown]
	s_waitcnt lgkmcnt(3)
	v_mfma_f32_32x32x8_f16 v[18:33], v[38:39], v[168:169], v[18:33]
	s_waitcnt lgkmcnt(1)
	v_mfma_f32_32x32x8_f16 v[2:17], v[48:49], v[168:169], v[2:17]
	v_mfma_f32_32x32x8_f16 v[18:33], v[34:35], v[166:167], v[18:33]
	s_waitcnt lgkmcnt(0)
	v_mfma_f32_32x32x8_f16 v[2:17], v[44:45], v[166:167], v[2:17]
	v_mfma_f32_32x32x8_f16 v[18:33], v[46:47], v[164:165], v[18:33]
	;; [unrolled: 1-line block ×5, first 2 shown]
	v_mov_b32_e32 v162, v206
	.loc	1 50 33                         ; attention_aot.py:50:33 @[ attention_aot.py:258:12 ]
	s_cbranch_scc0 .LBB0_137
.LBB0_73:                               ; =>This Inner Loop Header: Depth=1
	.loc	1 51 34                         ; attention_aot.py:51:34 @[ attention_aot.py:258:12 ]
	v_add_u32_e32 v34, s78, v161
	.loc	1 51 44 is_stmt 0               ; attention_aot.py:51:44 @[ attention_aot.py:258:12 ]
	v_cmp_gt_i32_e32 vcc, s90, v34
	v_mov_b32_e32 v34, 0
	.loc	1 54 22 is_stmt 1               ; attention_aot.py:54:22 @[ attention_aot.py:258:12 ]
	s_and_saveexec_b64 s[2:3], vcc
	s_cbranch_execz .LBB0_75
; %bb.74:                               ;   in Loop: Header=BB0_73 Depth=1
	.loc	1 51 34                         ; attention_aot.py:51:34 @[ attention_aot.py:258:12 ]
	v_lshl_add_u64 v[34:35], v[158:159], 0, s[72:73]
	.loc	1 54 22                         ; attention_aot.py:54:22 @[ attention_aot.py:258:12 ]
	global_load_ushort v34, v[34:35], off
.LBB0_75:                               ;   in Loop: Header=BB0_73 Depth=1
	.loc	1 0 22 is_stmt 0                ; attention_aot.py:0:22
	s_or_b64 exec, exec, s[2:3]
	v_mov_b32_e32 v35, 0
	v_mov_b32_e32 v36, 0
	.loc	1 54 22                         ; attention_aot.py:54:22 @[ attention_aot.py:258:12 ]
	s_and_saveexec_b64 s[2:3], vcc
	s_cbranch_execz .LBB0_77
; %bb.76:                               ;   in Loop: Header=BB0_73 Depth=1
	.loc	1 51 34 is_stmt 1               ; attention_aot.py:51:34 @[ attention_aot.py:258:12 ]
	v_lshl_add_u64 v[36:37], v[156:157], 0, s[72:73]
	.loc	1 54 22                         ; attention_aot.py:54:22 @[ attention_aot.py:258:12 ]
	global_load_ushort v36, v[36:37], off
.LBB0_77:                               ;   in Loop: Header=BB0_73 Depth=1
	.loc	1 0 22 is_stmt 0                ; attention_aot.py:0:22
	s_or_b64 exec, exec, s[2:3]
	.loc	1 54 22                         ; attention_aot.py:54:22 @[ attention_aot.py:258:12 ]
	s_and_saveexec_b64 s[2:3], vcc
	s_cbranch_execz .LBB0_79
; %bb.78:                               ;   in Loop: Header=BB0_73 Depth=1
	.loc	1 51 34 is_stmt 1               ; attention_aot.py:51:34 @[ attention_aot.py:258:12 ]
	v_lshl_add_u64 v[38:39], v[154:155], 0, s[72:73]
	.loc	1 54 22                         ; attention_aot.py:54:22 @[ attention_aot.py:258:12 ]
	global_load_ushort v35, v[38:39], off
.LBB0_79:                               ;   in Loop: Header=BB0_73 Depth=1
	.loc	1 0 22 is_stmt 0                ; attention_aot.py:0:22
	s_or_b64 exec, exec, s[2:3]
	v_mov_b32_e32 v37, 0
	v_mov_b32_e32 v38, 0
	.loc	1 54 22                         ; attention_aot.py:54:22 @[ attention_aot.py:258:12 ]
	s_and_saveexec_b64 s[2:3], vcc
	s_cbranch_execz .LBB0_81
; %bb.80:                               ;   in Loop: Header=BB0_73 Depth=1
	.loc	1 51 34 is_stmt 1               ; attention_aot.py:51:34 @[ attention_aot.py:258:12 ]
	v_lshl_add_u64 v[38:39], v[152:153], 0, s[72:73]
	.loc	1 54 22                         ; attention_aot.py:54:22 @[ attention_aot.py:258:12 ]
	global_load_ushort v38, v[38:39], off
.LBB0_81:                               ;   in Loop: Header=BB0_73 Depth=1
	.loc	1 0 22 is_stmt 0                ; attention_aot.py:0:22
	s_or_b64 exec, exec, s[2:3]
	.loc	1 54 22                         ; attention_aot.py:54:22 @[ attention_aot.py:258:12 ]
	s_and_saveexec_b64 s[2:3], vcc
	s_cbranch_execz .LBB0_83
; %bb.82:                               ;   in Loop: Header=BB0_73 Depth=1
	.loc	1 51 34 is_stmt 1               ; attention_aot.py:51:34 @[ attention_aot.py:258:12 ]
	v_lshl_add_u64 v[40:41], v[150:151], 0, s[72:73]
	.loc	1 54 22                         ; attention_aot.py:54:22 @[ attention_aot.py:258:12 ]
	global_load_ushort v37, v[40:41], off
.LBB0_83:                               ;   in Loop: Header=BB0_73 Depth=1
	;; [unrolled: 24-line block ×6, first 2 shown]
	.loc	1 0 22 is_stmt 0                ; attention_aot.py:0:22
	s_or_b64 exec, exec, s[2:3]
	v_mov_b32_e32 v47, 0
	v_mov_b32_e32 v48, 0
	.loc	1 54 22                         ; attention_aot.py:54:22 @[ attention_aot.py:258:12 ]
	s_and_saveexec_b64 s[2:3], vcc
	s_cbranch_execnz .LBB0_118
; %bb.100:                              ;   in Loop: Header=BB0_73 Depth=1
	.loc	1 0 22                          ; attention_aot.py:0:22
	s_or_b64 exec, exec, s[2:3]
	.loc	1 54 22                         ; attention_aot.py:54:22 @[ attention_aot.py:258:12 ]
	s_and_saveexec_b64 s[2:3], vcc
	s_cbranch_execnz .LBB0_119
.LBB0_101:                              ;   in Loop: Header=BB0_73 Depth=1
	.loc	1 0 22                          ; attention_aot.py:0:22
	s_or_b64 exec, exec, s[2:3]
	v_mov_b32_e32 v49, 0
	.loc	1 54 22                         ; attention_aot.py:54:22 @[ attention_aot.py:258:12 ]
	s_and_saveexec_b64 s[2:3], vcc
	s_cbranch_execnz .LBB0_120
.LBB0_102:                              ;   in Loop: Header=BB0_73 Depth=1
	.loc	1 0 22                          ; attention_aot.py:0:22
	s_or_b64 exec, exec, s[2:3]
	.loc	1 51 34 is_stmt 1               ; attention_aot.py:51:34 @[ attention_aot.py:258:12 ]
	s_add_i32 s2, s92, s78
	.loc	1 51 44 is_stmt 0               ; attention_aot.py:51:44 @[ attention_aot.py:258:12 ]
	s_cmp_ge_i32 s2, s90
	.loc	1 56 28 is_stmt 1               ; attention_aot.py:56:28 @[ attention_aot.py:258:12 ]
	s_cbranch_scc1 .LBB0_121
.LBB0_103:                              ;   in Loop: Header=BB0_73 Depth=1
	.loc	1 51 34                         ; attention_aot.py:51:34 @[ attention_aot.py:258:12 ]
	v_lshl_add_u64 v[50:51], v[126:127], 0, s[72:73]
	.loc	1 56 28                         ; attention_aot.py:56:28 @[ attention_aot.py:258:12 ]
	global_load_ushort v163, v[50:51], off
	.loc	1 51 34                         ; attention_aot.py:51:34 @[ attention_aot.py:258:12 ]
	s_add_i32 s3, s2, 1
	.loc	1 51 44 is_stmt 0               ; attention_aot.py:51:44 @[ attention_aot.py:258:12 ]
	s_cmp_ge_i32 s3, s90
	.loc	1 56 28 is_stmt 1               ; attention_aot.py:56:28 @[ attention_aot.py:258:12 ]
	s_cbranch_scc0 .LBB0_122
.LBB0_104:                              ;   in Loop: Header=BB0_73 Depth=1
	.loc	1 0 28 is_stmt 0                ; attention_aot.py:0:28
	v_mov_b32_e32 v164, 0
	.loc	1 51 34 is_stmt 1               ; attention_aot.py:51:34 @[ attention_aot.py:258:12 ]
	s_add_i32 s3, s2, 2
	.loc	1 51 44 is_stmt 0               ; attention_aot.py:51:44 @[ attention_aot.py:258:12 ]
	s_cmp_ge_i32 s3, s90
	.loc	1 56 28 is_stmt 1               ; attention_aot.py:56:28 @[ attention_aot.py:258:12 ]
	s_cbranch_scc0 .LBB0_123
.LBB0_105:                              ;   in Loop: Header=BB0_73 Depth=1
	.loc	1 0 28 is_stmt 0                ; attention_aot.py:0:28
	v_mov_b32_e32 v165, 0
	.loc	1 51 34 is_stmt 1               ; attention_aot.py:51:34 @[ attention_aot.py:258:12 ]
	s_add_i32 s3, s2, 3
	.loc	1 51 44 is_stmt 0               ; attention_aot.py:51:44 @[ attention_aot.py:258:12 ]
	s_cmp_ge_i32 s3, s90
	.loc	1 56 28 is_stmt 1               ; attention_aot.py:56:28 @[ attention_aot.py:258:12 ]
	s_cbranch_scc0 .LBB0_124
.LBB0_106:                              ;   in Loop: Header=BB0_73 Depth=1
	.loc	1 0 28 is_stmt 0                ; attention_aot.py:0:28
	v_mov_b32_e32 v166, 0
	.loc	1 51 34 is_stmt 1               ; attention_aot.py:51:34 @[ attention_aot.py:258:12 ]
	s_add_i32 s3, s2, 16
	.loc	1 51 44 is_stmt 0               ; attention_aot.py:51:44 @[ attention_aot.py:258:12 ]
	s_cmp_ge_i32 s3, s90
	.loc	1 56 28 is_stmt 1               ; attention_aot.py:56:28 @[ attention_aot.py:258:12 ]
	s_cbranch_scc0 .LBB0_125
.LBB0_107:                              ;   in Loop: Header=BB0_73 Depth=1
	.loc	1 0 28 is_stmt 0                ; attention_aot.py:0:28
	v_mov_b32_e32 v167, 0
	.loc	1 51 34 is_stmt 1               ; attention_aot.py:51:34 @[ attention_aot.py:258:12 ]
	s_add_i32 s3, s2, 17
	.loc	1 51 44 is_stmt 0               ; attention_aot.py:51:44 @[ attention_aot.py:258:12 ]
	s_cmp_ge_i32 s3, s90
	.loc	1 56 28 is_stmt 1               ; attention_aot.py:56:28 @[ attention_aot.py:258:12 ]
	s_cbranch_scc0 .LBB0_126
.LBB0_108:                              ;   in Loop: Header=BB0_73 Depth=1
	.loc	1 0 28 is_stmt 0                ; attention_aot.py:0:28
	v_mov_b32_e32 v168, 0
	.loc	1 51 34 is_stmt 1               ; attention_aot.py:51:34 @[ attention_aot.py:258:12 ]
	s_add_i32 s3, s2, 18
	.loc	1 51 44 is_stmt 0               ; attention_aot.py:51:44 @[ attention_aot.py:258:12 ]
	s_cmp_ge_i32 s3, s90
	.loc	1 56 28 is_stmt 1               ; attention_aot.py:56:28 @[ attention_aot.py:258:12 ]
	s_cbranch_scc0 .LBB0_127
.LBB0_109:                              ;   in Loop: Header=BB0_73 Depth=1
	.loc	1 0 28 is_stmt 0                ; attention_aot.py:0:28
	v_mov_b32_e32 v169, 0
	.loc	1 51 34 is_stmt 1               ; attention_aot.py:51:34 @[ attention_aot.py:258:12 ]
	s_add_i32 s3, s2, 19
	.loc	1 51 44 is_stmt 0               ; attention_aot.py:51:44 @[ attention_aot.py:258:12 ]
	s_cmp_ge_i32 s3, s90
	.loc	1 56 28 is_stmt 1               ; attention_aot.py:56:28 @[ attention_aot.py:258:12 ]
	s_cbranch_scc0 .LBB0_128
.LBB0_110:                              ;   in Loop: Header=BB0_73 Depth=1
	.loc	1 0 28 is_stmt 0                ; attention_aot.py:0:28
	v_mov_b32_e32 v170, 0
	.loc	1 51 34 is_stmt 1               ; attention_aot.py:51:34 @[ attention_aot.py:258:12 ]
	s_add_i32 s3, s2, 32
	.loc	1 51 44 is_stmt 0               ; attention_aot.py:51:44 @[ attention_aot.py:258:12 ]
	s_cmp_ge_i32 s3, s90
	.loc	1 56 28 is_stmt 1               ; attention_aot.py:56:28 @[ attention_aot.py:258:12 ]
	s_cbranch_scc0 .LBB0_129
.LBB0_111:                              ;   in Loop: Header=BB0_73 Depth=1
	.loc	1 0 28 is_stmt 0                ; attention_aot.py:0:28
	v_mov_b32_e32 v171, 0
	.loc	1 51 34 is_stmt 1               ; attention_aot.py:51:34 @[ attention_aot.py:258:12 ]
	s_add_i32 s3, s2, 33
	.loc	1 51 44 is_stmt 0               ; attention_aot.py:51:44 @[ attention_aot.py:258:12 ]
	s_cmp_ge_i32 s3, s90
	.loc	1 56 28 is_stmt 1               ; attention_aot.py:56:28 @[ attention_aot.py:258:12 ]
	s_cbranch_scc0 .LBB0_130
.LBB0_112:                              ;   in Loop: Header=BB0_73 Depth=1
	.loc	1 0 28 is_stmt 0                ; attention_aot.py:0:28
	v_mov_b32_e32 v172, 0
	.loc	1 51 34 is_stmt 1               ; attention_aot.py:51:34 @[ attention_aot.py:258:12 ]
	s_add_i32 s3, s2, 34
	.loc	1 51 44 is_stmt 0               ; attention_aot.py:51:44 @[ attention_aot.py:258:12 ]
	s_cmp_ge_i32 s3, s90
	.loc	1 56 28 is_stmt 1               ; attention_aot.py:56:28 @[ attention_aot.py:258:12 ]
	s_cbranch_scc0 .LBB0_131
.LBB0_113:                              ;   in Loop: Header=BB0_73 Depth=1
	.loc	1 0 28 is_stmt 0                ; attention_aot.py:0:28
	v_mov_b32_e32 v173, 0
	.loc	1 51 34 is_stmt 1               ; attention_aot.py:51:34 @[ attention_aot.py:258:12 ]
	s_add_i32 s3, s2, 35
	.loc	1 51 44 is_stmt 0               ; attention_aot.py:51:44 @[ attention_aot.py:258:12 ]
	s_cmp_ge_i32 s3, s90
	.loc	1 56 28 is_stmt 1               ; attention_aot.py:56:28 @[ attention_aot.py:258:12 ]
	s_cbranch_scc0 .LBB0_132
.LBB0_114:                              ;   in Loop: Header=BB0_73 Depth=1
	.loc	1 0 28 is_stmt 0                ; attention_aot.py:0:28
	v_mov_b32_e32 v207, 0
	.loc	1 51 34 is_stmt 1               ; attention_aot.py:51:34 @[ attention_aot.py:258:12 ]
	s_add_i32 s3, s2, 48
	.loc	1 51 44 is_stmt 0               ; attention_aot.py:51:44 @[ attention_aot.py:258:12 ]
	s_cmp_ge_i32 s3, s90
	.loc	1 56 28 is_stmt 1               ; attention_aot.py:56:28 @[ attention_aot.py:258:12 ]
	s_cbranch_scc0 .LBB0_133
.LBB0_115:                              ;   in Loop: Header=BB0_73 Depth=1
	.loc	1 0 28 is_stmt 0                ; attention_aot.py:0:28
	v_mov_b32_e32 v208, 0
	.loc	1 51 34 is_stmt 1               ; attention_aot.py:51:34 @[ attention_aot.py:258:12 ]
	s_add_i32 s3, s2, 49
	.loc	1 51 44 is_stmt 0               ; attention_aot.py:51:44 @[ attention_aot.py:258:12 ]
	s_cmp_ge_i32 s3, s90
	.loc	1 56 28 is_stmt 1               ; attention_aot.py:56:28 @[ attention_aot.py:258:12 ]
	s_cbranch_scc0 .LBB0_134
.LBB0_116:                              ;   in Loop: Header=BB0_73 Depth=1
	.loc	1 0 28 is_stmt 0                ; attention_aot.py:0:28
	v_mov_b32_e32 v209, 0
	.loc	1 51 34 is_stmt 1               ; attention_aot.py:51:34 @[ attention_aot.py:258:12 ]
	s_add_i32 s3, s2, 50
	.loc	1 51 44 is_stmt 0               ; attention_aot.py:51:44 @[ attention_aot.py:258:12 ]
	s_cmp_ge_i32 s3, s90
	.loc	1 56 28 is_stmt 1               ; attention_aot.py:56:28 @[ attention_aot.py:258:12 ]
	s_cbranch_scc0 .LBB0_135
.LBB0_117:                              ;   in Loop: Header=BB0_73 Depth=1
	.loc	1 0 28 is_stmt 0                ; attention_aot.py:0:28
	v_mov_b32_e32 v210, 0
	.loc	1 51 44 is_stmt 1               ; attention_aot.py:51:44 @[ attention_aot.py:258:12 ]
	s_add_i32 s2, s2, 51
	s_cmp_ge_i32 s2, s90
	.loc	1 56 28                         ; attention_aot.py:56:28 @[ attention_aot.py:258:12 ]
	s_cbranch_scc0 .LBB0_71
	s_branch .LBB0_136
.LBB0_118:                              ;   in Loop: Header=BB0_73 Depth=1
	.loc	1 51 34                         ; attention_aot.py:51:34 @[ attention_aot.py:258:12 ]
	v_lshl_add_u64 v[48:49], v[132:133], 0, s[72:73]
	.loc	1 54 22                         ; attention_aot.py:54:22 @[ attention_aot.py:258:12 ]
	global_load_ushort v48, v[48:49], off
	s_or_b64 exec, exec, s[2:3]
	s_and_saveexec_b64 s[2:3], vcc
	s_cbranch_execz .LBB0_101
.LBB0_119:                              ;   in Loop: Header=BB0_73 Depth=1
	.loc	1 51 34                         ; attention_aot.py:51:34 @[ attention_aot.py:258:12 ]
	v_lshl_add_u64 v[50:51], v[130:131], 0, s[72:73]
	.loc	1 54 22                         ; attention_aot.py:54:22 @[ attention_aot.py:258:12 ]
	global_load_ushort v47, v[50:51], off
	s_or_b64 exec, exec, s[2:3]
	v_mov_b32_e32 v49, 0
	s_and_saveexec_b64 s[2:3], vcc
	s_cbranch_execz .LBB0_102
.LBB0_120:                              ;   in Loop: Header=BB0_73 Depth=1
	.loc	1 51 34                         ; attention_aot.py:51:34 @[ attention_aot.py:258:12 ]
	v_lshl_add_u64 v[50:51], v[128:129], 0, s[72:73]
	.loc	1 54 22                         ; attention_aot.py:54:22 @[ attention_aot.py:258:12 ]
	global_load_ushort v49, v[50:51], off
	s_or_b64 exec, exec, s[2:3]
	.loc	1 51 34                         ; attention_aot.py:51:34 @[ attention_aot.py:258:12 ]
	s_add_i32 s2, s92, s78
	.loc	1 51 44 is_stmt 0               ; attention_aot.py:51:44 @[ attention_aot.py:258:12 ]
	s_cmp_ge_i32 s2, s90
	.loc	1 56 28 is_stmt 1               ; attention_aot.py:56:28 @[ attention_aot.py:258:12 ]
	s_cbranch_scc0 .LBB0_103
.LBB0_121:                              ;   in Loop: Header=BB0_73 Depth=1
	.loc	1 0 28 is_stmt 0                ; attention_aot.py:0:28
	v_mov_b32_e32 v163, 0
	.loc	1 51 34 is_stmt 1               ; attention_aot.py:51:34 @[ attention_aot.py:258:12 ]
	s_add_i32 s3, s2, 1
	.loc	1 51 44 is_stmt 0               ; attention_aot.py:51:44 @[ attention_aot.py:258:12 ]
	s_cmp_ge_i32 s3, s90
	.loc	1 56 28 is_stmt 1               ; attention_aot.py:56:28 @[ attention_aot.py:258:12 ]
	s_cbranch_scc1 .LBB0_104
.LBB0_122:                              ;   in Loop: Header=BB0_73 Depth=1
	.loc	1 51 34                         ; attention_aot.py:51:34 @[ attention_aot.py:258:12 ]
	v_lshl_add_u64 v[50:51], v[124:125], 0, s[72:73]
	.loc	1 56 28                         ; attention_aot.py:56:28 @[ attention_aot.py:258:12 ]
	global_load_ushort v164, v[50:51], off
	.loc	1 51 34                         ; attention_aot.py:51:34 @[ attention_aot.py:258:12 ]
	s_add_i32 s3, s2, 2
	.loc	1 51 44 is_stmt 0               ; attention_aot.py:51:44 @[ attention_aot.py:258:12 ]
	s_cmp_ge_i32 s3, s90
	.loc	1 56 28 is_stmt 1               ; attention_aot.py:56:28 @[ attention_aot.py:258:12 ]
	s_cbranch_scc1 .LBB0_105
.LBB0_123:                              ;   in Loop: Header=BB0_73 Depth=1
	.loc	1 51 34                         ; attention_aot.py:51:34 @[ attention_aot.py:258:12 ]
	v_lshl_add_u64 v[50:51], v[122:123], 0, s[72:73]
	.loc	1 56 28                         ; attention_aot.py:56:28 @[ attention_aot.py:258:12 ]
	global_load_ushort v165, v[50:51], off
	.loc	1 51 34                         ; attention_aot.py:51:34 @[ attention_aot.py:258:12 ]
	s_add_i32 s3, s2, 3
	.loc	1 51 44 is_stmt 0               ; attention_aot.py:51:44 @[ attention_aot.py:258:12 ]
	s_cmp_ge_i32 s3, s90
	.loc	1 56 28 is_stmt 1               ; attention_aot.py:56:28 @[ attention_aot.py:258:12 ]
	s_cbranch_scc1 .LBB0_106
.LBB0_124:                              ;   in Loop: Header=BB0_73 Depth=1
	.loc	1 51 34                         ; attention_aot.py:51:34 @[ attention_aot.py:258:12 ]
	v_lshl_add_u64 v[50:51], v[120:121], 0, s[72:73]
	.loc	1 56 28                         ; attention_aot.py:56:28 @[ attention_aot.py:258:12 ]
	global_load_ushort v166, v[50:51], off
	.loc	1 51 34                         ; attention_aot.py:51:34 @[ attention_aot.py:258:12 ]
	s_add_i32 s3, s2, 16
	.loc	1 51 44 is_stmt 0               ; attention_aot.py:51:44 @[ attention_aot.py:258:12 ]
	s_cmp_ge_i32 s3, s90
	.loc	1 56 28 is_stmt 1               ; attention_aot.py:56:28 @[ attention_aot.py:258:12 ]
	s_cbranch_scc1 .LBB0_107
.LBB0_125:                              ;   in Loop: Header=BB0_73 Depth=1
	.loc	1 51 34                         ; attention_aot.py:51:34 @[ attention_aot.py:258:12 ]
	v_lshl_add_u64 v[50:51], v[118:119], 0, s[72:73]
	.loc	1 56 28                         ; attention_aot.py:56:28 @[ attention_aot.py:258:12 ]
	global_load_ushort v167, v[50:51], off
	.loc	1 51 34                         ; attention_aot.py:51:34 @[ attention_aot.py:258:12 ]
	s_add_i32 s3, s2, 17
	.loc	1 51 44 is_stmt 0               ; attention_aot.py:51:44 @[ attention_aot.py:258:12 ]
	s_cmp_ge_i32 s3, s90
	.loc	1 56 28 is_stmt 1               ; attention_aot.py:56:28 @[ attention_aot.py:258:12 ]
	s_cbranch_scc1 .LBB0_108
.LBB0_126:                              ;   in Loop: Header=BB0_73 Depth=1
	.loc	1 51 34                         ; attention_aot.py:51:34 @[ attention_aot.py:258:12 ]
	v_lshl_add_u64 v[50:51], v[116:117], 0, s[72:73]
	.loc	1 56 28                         ; attention_aot.py:56:28 @[ attention_aot.py:258:12 ]
	global_load_ushort v168, v[50:51], off
	.loc	1 51 34                         ; attention_aot.py:51:34 @[ attention_aot.py:258:12 ]
	s_add_i32 s3, s2, 18
	.loc	1 51 44 is_stmt 0               ; attention_aot.py:51:44 @[ attention_aot.py:258:12 ]
	s_cmp_ge_i32 s3, s90
	.loc	1 56 28 is_stmt 1               ; attention_aot.py:56:28 @[ attention_aot.py:258:12 ]
	s_cbranch_scc1 .LBB0_109
.LBB0_127:                              ;   in Loop: Header=BB0_73 Depth=1
	.loc	1 51 34                         ; attention_aot.py:51:34 @[ attention_aot.py:258:12 ]
	v_lshl_add_u64 v[50:51], v[114:115], 0, s[72:73]
	.loc	1 56 28                         ; attention_aot.py:56:28 @[ attention_aot.py:258:12 ]
	global_load_ushort v169, v[50:51], off
	.loc	1 51 34                         ; attention_aot.py:51:34 @[ attention_aot.py:258:12 ]
	s_add_i32 s3, s2, 19
	.loc	1 51 44 is_stmt 0               ; attention_aot.py:51:44 @[ attention_aot.py:258:12 ]
	s_cmp_ge_i32 s3, s90
	.loc	1 56 28 is_stmt 1               ; attention_aot.py:56:28 @[ attention_aot.py:258:12 ]
	s_cbranch_scc1 .LBB0_110
.LBB0_128:                              ;   in Loop: Header=BB0_73 Depth=1
	.loc	1 51 34                         ; attention_aot.py:51:34 @[ attention_aot.py:258:12 ]
	v_lshl_add_u64 v[50:51], v[112:113], 0, s[72:73]
	.loc	1 56 28                         ; attention_aot.py:56:28 @[ attention_aot.py:258:12 ]
	global_load_ushort v170, v[50:51], off
	.loc	1 51 34                         ; attention_aot.py:51:34 @[ attention_aot.py:258:12 ]
	s_add_i32 s3, s2, 32
	.loc	1 51 44 is_stmt 0               ; attention_aot.py:51:44 @[ attention_aot.py:258:12 ]
	s_cmp_ge_i32 s3, s90
	.loc	1 56 28 is_stmt 1               ; attention_aot.py:56:28 @[ attention_aot.py:258:12 ]
	s_cbranch_scc1 .LBB0_111
.LBB0_129:                              ;   in Loop: Header=BB0_73 Depth=1
	.loc	1 51 34                         ; attention_aot.py:51:34 @[ attention_aot.py:258:12 ]
	v_lshl_add_u64 v[50:51], v[110:111], 0, s[72:73]
	.loc	1 56 28                         ; attention_aot.py:56:28 @[ attention_aot.py:258:12 ]
	global_load_ushort v171, v[50:51], off
	.loc	1 51 34                         ; attention_aot.py:51:34 @[ attention_aot.py:258:12 ]
	s_add_i32 s3, s2, 33
	.loc	1 51 44 is_stmt 0               ; attention_aot.py:51:44 @[ attention_aot.py:258:12 ]
	s_cmp_ge_i32 s3, s90
	.loc	1 56 28 is_stmt 1               ; attention_aot.py:56:28 @[ attention_aot.py:258:12 ]
	s_cbranch_scc1 .LBB0_112
.LBB0_130:                              ;   in Loop: Header=BB0_73 Depth=1
	.loc	1 51 34                         ; attention_aot.py:51:34 @[ attention_aot.py:258:12 ]
	v_lshl_add_u64 v[50:51], v[108:109], 0, s[72:73]
	.loc	1 56 28                         ; attention_aot.py:56:28 @[ attention_aot.py:258:12 ]
	global_load_ushort v172, v[50:51], off
	.loc	1 51 34                         ; attention_aot.py:51:34 @[ attention_aot.py:258:12 ]
	s_add_i32 s3, s2, 34
	.loc	1 51 44 is_stmt 0               ; attention_aot.py:51:44 @[ attention_aot.py:258:12 ]
	s_cmp_ge_i32 s3, s90
	.loc	1 56 28 is_stmt 1               ; attention_aot.py:56:28 @[ attention_aot.py:258:12 ]
	s_cbranch_scc1 .LBB0_113
.LBB0_131:                              ;   in Loop: Header=BB0_73 Depth=1
	.loc	1 51 34                         ; attention_aot.py:51:34 @[ attention_aot.py:258:12 ]
	v_lshl_add_u64 v[50:51], v[0:1], 0, s[72:73]
	.loc	1 56 28                         ; attention_aot.py:56:28 @[ attention_aot.py:258:12 ]
	global_load_ushort v173, v[50:51], off
	.loc	1 51 34                         ; attention_aot.py:51:34 @[ attention_aot.py:258:12 ]
	s_add_i32 s3, s2, 35
	.loc	1 51 44 is_stmt 0               ; attention_aot.py:51:44 @[ attention_aot.py:258:12 ]
	s_cmp_ge_i32 s3, s90
	.loc	1 56 28 is_stmt 1               ; attention_aot.py:56:28 @[ attention_aot.py:258:12 ]
	s_cbranch_scc1 .LBB0_114
.LBB0_132:                              ;   in Loop: Header=BB0_73 Depth=1
	.loc	1 51 34                         ; attention_aot.py:51:34 @[ attention_aot.py:258:12 ]
	v_lshl_add_u64 v[50:51], v[106:107], 0, s[72:73]
	.loc	1 56 28                         ; attention_aot.py:56:28 @[ attention_aot.py:258:12 ]
	global_load_ushort v207, v[50:51], off
	.loc	1 51 34                         ; attention_aot.py:51:34 @[ attention_aot.py:258:12 ]
	s_add_i32 s3, s2, 48
	.loc	1 51 44 is_stmt 0               ; attention_aot.py:51:44 @[ attention_aot.py:258:12 ]
	s_cmp_ge_i32 s3, s90
	.loc	1 56 28 is_stmt 1               ; attention_aot.py:56:28 @[ attention_aot.py:258:12 ]
	s_cbranch_scc1 .LBB0_115
.LBB0_133:                              ;   in Loop: Header=BB0_73 Depth=1
	.loc	1 51 34                         ; attention_aot.py:51:34 @[ attention_aot.py:258:12 ]
	v_lshl_add_u64 v[50:51], v[104:105], 0, s[72:73]
	.loc	1 56 28                         ; attention_aot.py:56:28 @[ attention_aot.py:258:12 ]
	global_load_ushort v208, v[50:51], off
	.loc	1 51 34                         ; attention_aot.py:51:34 @[ attention_aot.py:258:12 ]
	s_add_i32 s3, s2, 49
	.loc	1 51 44 is_stmt 0               ; attention_aot.py:51:44 @[ attention_aot.py:258:12 ]
	s_cmp_ge_i32 s3, s90
	.loc	1 56 28 is_stmt 1               ; attention_aot.py:56:28 @[ attention_aot.py:258:12 ]
	s_cbranch_scc1 .LBB0_116
.LBB0_134:                              ;   in Loop: Header=BB0_73 Depth=1
	.loc	1 51 34                         ; attention_aot.py:51:34 @[ attention_aot.py:258:12 ]
	v_lshl_add_u64 v[50:51], v[102:103], 0, s[72:73]
	.loc	1 56 28                         ; attention_aot.py:56:28 @[ attention_aot.py:258:12 ]
	global_load_ushort v209, v[50:51], off
	.loc	1 51 34                         ; attention_aot.py:51:34 @[ attention_aot.py:258:12 ]
	s_add_i32 s3, s2, 50
	.loc	1 51 44 is_stmt 0               ; attention_aot.py:51:44 @[ attention_aot.py:258:12 ]
	s_cmp_ge_i32 s3, s90
	.loc	1 56 28 is_stmt 1               ; attention_aot.py:56:28 @[ attention_aot.py:258:12 ]
	s_cbranch_scc1 .LBB0_117
.LBB0_135:                              ;   in Loop: Header=BB0_73 Depth=1
	.loc	1 51 34                         ; attention_aot.py:51:34 @[ attention_aot.py:258:12 ]
	v_lshl_add_u64 v[50:51], v[100:101], 0, s[72:73]
	.loc	1 56 28                         ; attention_aot.py:56:28 @[ attention_aot.py:258:12 ]
	global_load_ushort v210, v[50:51], off
	.loc	1 51 44                         ; attention_aot.py:51:44 @[ attention_aot.py:258:12 ]
	s_add_i32 s2, s2, 51
	s_cmp_ge_i32 s2, s90
	.loc	1 56 28                         ; attention_aot.py:56:28 @[ attention_aot.py:258:12 ]
	s_cbranch_scc0 .LBB0_71
.LBB0_136:                              ;   in Loop: Header=BB0_73 Depth=1
	.loc	1 0 28 is_stmt 0                ; attention_aot.py:0:28
	v_mov_b32_e32 v211, 0
	.loc	1 56 28                         ; attention_aot.py:56:28 @[ attention_aot.py:258:12 ]
	s_branch .LBB0_72
.Ltmp123:
.LBB0_137:                              ; %._crit_edge.loopexit
	.loc	1 0 28                          ; attention_aot.py:0:28
	scratch_load_dword v43, off, off offset:4 ; 4-byte Folded Reload
	scratch_load_dword v44, off, off offset:8 ; 4-byte Folded Reload
	;; [unrolled: 1-line block ×3, first 2 shown]
	v_mov_b32_e32 v35, s93
.LBB0_138:                              ; %Flow534
	s_mov_b32 s4, 0x800000
	.loc	1 290 24 is_stmt 1              ; attention_aot.py:290:24
	v_mov_b32_e32 v0, 0x42000000
	v_cmp_gt_f32_e32 vcc, s4, v206
	s_load_dwordx4 s[0:3], s[0:1], 0x78
	.loc	1 291 16                        ; attention_aot.py:291:16
	s_waitcnt lgkmcnt(0)
	.loc	1 290 24                        ; attention_aot.py:290:24
	v_cndmask_b32_e32 v1, 0, v0, vcc
	v_cndmask_b32_e64 v0, 0, 32, vcc
	v_ldexp_f32 v0, v206, v0
	v_log_f32_e32 v34, v0
	.loc	1 291 16                        ; attention_aot.py:291:16
	s_barrier
	.loc	1 178 33                        ; attention_aot.py:178:33
	s_waitcnt vmcnt(2)
	v_or_b32_e32 v0, s16, v43
	.loc	1 293 21                        ; attention_aot.py:293:21
	s_cmp_eq_u32 s89, 0
	.loc	1 290 24                        ; attention_aot.py:290:24
	v_sub_f32_e32 v1, v34, v1
	.loc	1 291 16                        ; attention_aot.py:291:16
	s_waitcnt vmcnt(0)
	v_add_u32_e32 v34, 0, v45
	v_add_u32_e32 v36, v34, v35
	;; [unrolled: 1-line block ×3, first 2 shown]
	ds_write_b32 v36, v206
	s_waitcnt lgkmcnt(0)
	s_barrier
	ds_read_b32 v35, v34
	.loc	1 179 27                        ; attention_aot.py:179:27
	v_cmp_gt_i32_e32 vcc, s87, v0
	.loc	1 293 21                        ; attention_aot.py:293:21
	s_cselect_b64 s[4:5], -1, 0
	.loc	1 290 11                        ; attention_aot.py:290:11
	v_add_f32_e32 v1, v205, v1
	.loc	1 293 21                        ; attention_aot.py:293:21
	s_and_b64 s[6:7], s[4:5], vcc
	s_waitcnt lgkmcnt(0)
	s_barrier
	ds_write_b32 v36, v1
	s_waitcnt lgkmcnt(0)
	s_barrier
	s_and_saveexec_b64 s[4:5], s[6:7]
	s_cbranch_execz .LBB0_140
; %bb.139:
	v_lshl_add_u32 v1, v43, 2, 0
	.loc	1 292 26                        ; attention_aot.py:292:26
	s_mul_i32 s6, s87, s17
	.loc	1 292 17 is_stmt 0              ; attention_aot.py:292:17
	s_ashr_i32 s7, s6, 31
	.loc	1 293 21 is_stmt 1              ; attention_aot.py:293:21
	ds_read_b32 v34, v1
	.loc	1 292 17                        ; attention_aot.py:292:17
	s_lshl_b64 s[6:7], s[6:7], 2
	s_add_u32 s6, s12, s6
	s_addc_u32 s7, s13, s7
	.loc	1 292 34 is_stmt 0              ; attention_aot.py:292:34
	v_ashrrev_i32_e32 v1, 31, v0
	v_lshl_add_u64 v[0:1], v[0:1], 2, s[6:7]
	.loc	1 293 21 is_stmt 1              ; attention_aot.py:293:21
	s_waitcnt lgkmcnt(0)
	global_store_dword v[0:1], v34, off
.LBB0_140:
	.loc	1 0 21 is_stmt 0                ; attention_aot.py:0:21
	s_or_b64 exec, exec, s[4:5]
	.loc	1 175 33 is_stmt 1              ; attention_aot.py:175:33
	s_lshr_b32 s4, s89, 2
	.loc	1 178 33                        ; attention_aot.py:178:33
	v_or_b32_e32 v0, s4, v44
	v_or_b32_e32 v34, s16, v0
	.loc	1 179 27                        ; attention_aot.py:179:27
	v_cmp_gt_i32_e32 vcc, s87, v34
	.loc	1 294 26                        ; attention_aot.py:294:26
	s_and_saveexec_b64 s[4:5], vcc
	s_cbranch_execz .LBB0_142
; %bb.141:                              ; %.critedge
	.loc	1 291 16                        ; attention_aot.py:291:16
	v_div_scale_f32 v0, s[4:5], v35, v35, v18
	v_rcp_f32_e32 v1, v0
	v_div_scale_f32 v36, vcc, v18, v35, v18
	.loc	1 169 72                        ; attention_aot.py:169:72
	s_mul_hi_i32 s7, s33, s1
	.loc	1 291 16                        ; attention_aot.py:291:16
	v_fma_f32 v37, -v0, v1, 1.0
	v_fmac_f32_e32 v1, v37, v1
	v_mul_f32_e32 v37, v36, v1
	v_fma_f32 v38, -v0, v37, v36
	v_fmac_f32_e32 v37, v38, v1
	v_fma_f32 v0, -v0, v37, v36
	v_div_scale_f32 v36, s[4:5], v35, v35, v19
	v_rcp_f32_e32 v38, v36
	v_div_fmas_f32 v0, v0, v1, v37
	v_div_fixup_f32 v0, v0, v35, v18
	.loc	1 169 72                        ; attention_aot.py:169:72
	s_mul_i32 s6, s33, s1
	.loc	1 291 16                        ; attention_aot.py:291:16
	v_fma_f32 v1, -v36, v38, 1.0
	v_fmac_f32_e32 v38, v1, v38
	v_div_scale_f32 v1, vcc, v19, v35, v19
	v_mul_f32_e32 v18, v1, v38
	v_fma_f32 v37, -v36, v18, v1
	v_fmac_f32_e32 v18, v37, v38
	v_fma_f32 v1, -v36, v18, v1
	v_div_scale_f32 v36, s[4:5], v35, v35, v20
	v_rcp_f32_e32 v37, v36
	v_div_fmas_f32 v1, v1, v38, v18
	v_div_fixup_f32 v1, v1, v35, v19
	.loc	1 294 33                        ; attention_aot.py:294:33
	v_cvt_f16_f32_e32 v0, v0
	.loc	1 291 16                        ; attention_aot.py:291:16
	v_fma_f32 v18, -v36, v37, 1.0
	v_fmac_f32_e32 v37, v18, v37
	v_div_scale_f32 v18, vcc, v20, v35, v20
	v_mul_f32_e32 v19, v18, v37
	v_fma_f32 v38, -v36, v19, v18
	v_fmac_f32_e32 v19, v38, v37
	v_fma_f32 v18, -v36, v19, v18
	v_div_scale_f32 v36, s[4:5], v35, v35, v21
	v_rcp_f32_e32 v38, v36
	v_div_fmas_f32 v18, v18, v37, v19
	v_div_fixup_f32 v18, v18, v35, v20
	.loc	1 294 33                        ; attention_aot.py:294:33
	v_cvt_f16_f32_e32 v1, v1
	;; [unrolled: 14-line block ×16, first 2 shown]
	.loc	1 291 16                        ; attention_aot.py:291:16
	v_fma_f32 v2, -v36, v38, 1.0
	v_fmac_f32_e32 v38, v2, v38
	v_div_scale_f32 v2, vcc, v3, v35, v3
	v_mul_f32_e32 v32, v2, v38
	v_fma_f32 v33, -v36, v32, v2
	v_fmac_f32_e32 v32, v33, v38
	v_div_scale_f32 v33, s[4:5], v35, v35, v4
	v_fma_f32 v2, -v36, v32, v2
	v_rcp_f32_e32 v36, v33
	v_div_fmas_f32 v2, v2, v38, v32
	v_div_fixup_f32 v83, v2, v35, v3
	.loc	1 294 33                        ; attention_aot.py:294:33
	v_cvt_f16_f32_e32 v83, v83
	.loc	1 291 16                        ; attention_aot.py:291:16
	v_fma_f32 v2, -v33, v36, 1.0
	v_fmac_f32_e32 v36, v2, v36
	v_div_scale_f32 v2, vcc, v4, v35, v4
	v_mul_f32_e32 v3, v2, v36
	v_fma_f32 v32, -v33, v3, v2
	v_fmac_f32_e32 v3, v32, v36
	v_div_scale_f32 v32, s[4:5], v35, v35, v5
	v_fma_f32 v2, -v33, v3, v2
	v_rcp_f32_e32 v33, v32
	v_div_fmas_f32 v2, v2, v36, v3
	v_div_fixup_f32 v84, v2, v35, v4
	.loc	1 294 33                        ; attention_aot.py:294:33
	v_cvt_f16_f32_e32 v84, v84
	;; [unrolled: 14-line block ×3, first 2 shown]
	.loc	1 291 16                        ; attention_aot.py:291:16
	v_fma_f32 v2, -v4, v32, 1.0
	v_fmac_f32_e32 v32, v2, v32
	v_div_scale_f32 v2, vcc, v6, v35, v6
	v_mul_f32_e32 v3, v2, v32
	v_fma_f32 v5, -v4, v3, v2
	v_fmac_f32_e32 v3, v5, v32
	v_fma_f32 v2, -v4, v3, v2
	v_div_scale_f32 v4, s[4:5], v35, v35, v7
	v_rcp_f32_e32 v5, v4
	v_div_fmas_f32 v2, v2, v32, v3
	v_div_fixup_f32 v86, v2, v35, v6
	.loc	1 294 33                        ; attention_aot.py:294:33
	v_cvt_f16_f32_e32 v86, v86
	.loc	1 291 16                        ; attention_aot.py:291:16
	v_fma_f32 v2, -v4, v5, 1.0
	v_fmac_f32_e32 v5, v2, v5
	v_div_scale_f32 v2, vcc, v7, v35, v7
	v_mul_f32_e32 v3, v2, v5
	v_fma_f32 v6, -v4, v3, v2
	v_fmac_f32_e32 v3, v6, v5
	v_fma_f32 v2, -v4, v3, v2
	v_div_scale_f32 v4, s[4:5], v35, v35, v8
	v_rcp_f32_e32 v6, v4
	v_div_fmas_f32 v2, v2, v5, v3
	v_div_fixup_f32 v87, v2, v35, v7
	.loc	1 294 33                        ; attention_aot.py:294:33
	v_cvt_f16_f32_e32 v87, v87
	;; [unrolled: 14-line block ×10, first 2 shown]
	.loc	1 291 16                        ; attention_aot.py:291:16
	v_fma_f32 v2, -v4, v6, 1.0
	v_fmac_f32_e32 v6, v2, v6
	v_div_scale_f32 v2, vcc, v16, v35, v16
	v_mul_f32_e32 v3, v2, v6
	v_fma_f32 v5, -v4, v3, v2
	v_fmac_f32_e32 v3, v5, v6
	v_fma_f32 v2, -v4, v3, v2
	v_div_scale_f32 v4, s[4:5], v35, v35, v17
	v_rcp_f32_e32 v5, v4
	v_div_fmas_f32 v2, v2, v6, v3
	v_div_fixup_f32 v96, v2, v35, v16
	.loc	1 169 32                        ; attention_aot.py:169:32
	s_mul_hi_i32 s5, s86, s0
	.loc	1 291 16                        ; attention_aot.py:291:16
	v_fma_f32 v2, -v4, v5, 1.0
	v_fmac_f32_e32 v5, v2, v5
	v_div_scale_f32 v2, vcc, v17, v35, v17
	v_mul_f32_e32 v3, v2, v5
	v_fma_f32 v6, -v4, v3, v2
	v_fmac_f32_e32 v3, v6, v5
	v_fma_f32 v2, -v4, v3, v2
	v_div_fmas_f32 v2, v2, v5, v3
	v_div_fixup_f32 v97, v2, v35, v17
	.loc	1 186 24                        ; attention_aot.py:186:24
	scratch_load_dword v2, off, off         ; 4-byte Folded Reload
	.loc	1 169 32                        ; attention_aot.py:169:32
	s_mul_i32 s4, s86, s0
	.loc	1 186 24                        ; attention_aot.py:186:24
	s_lshr_b32 s0, s88, 1
	.loc	1 294 33                        ; attention_aot.py:294:33
	v_cvt_f16_f32_e32 v20, v20
	.loc	1 186 24                        ; attention_aot.py:186:24
	s_waitcnt vmcnt(0)
	v_or_b32_e32 v4, s0, v2
	.loc	1 217 10                        ; attention_aot.py:217:10
	s_lshl_b64 s[0:1], s[4:5], 1
	s_add_u32 s4, s14, s0
	s_addc_u32 s5, s15, s1
	s_lshl_b64 s[0:1], s[6:7], 1
	s_add_u32 s0, s4, s0
	.loc	1 218 28                        ; attention_aot.py:218:28
	v_mul_lo_u32 v2, v34, s2
	.loc	1 186 24                        ; attention_aot.py:186:24
	v_or_b32_e32 v5, 1, v4
	v_or_b32_e32 v7, 2, v4
	;; [unrolled: 1-line block ×31, first 2 shown]
	.loc	1 217 10                        ; attention_aot.py:217:10
	s_addc_u32 s1, s5, s1
	.loc	1 218 10                        ; attention_aot.py:218:10
	v_ashrrev_i32_e32 v3, 31, v2
	.loc	1 219 35                        ; attention_aot.py:219:35
	v_mul_lo_u32 v4, v4, s3
	.loc	1 218 10                        ; attention_aot.py:218:10
	v_lshl_add_u64 v[2:3], v[2:3], 1, s[0:1]
	.loc	1 219 35                        ; attention_aot.py:219:35
	v_mul_lo_u32 v6, v5, s3
	v_mul_lo_u32 v8, v7, s3
	;; [unrolled: 1-line block ×31, first 2 shown]
	.loc	1 219 10 is_stmt 0              ; attention_aot.py:219:10
	v_ashrrev_i32_e32 v5, 31, v4
	v_lshl_add_u64 v[4:5], v[4:5], 1, v[2:3]
	v_ashrrev_i32_e32 v7, 31, v6
	v_ashrrev_i32_e32 v9, 31, v8
	;; [unrolled: 1-line block ×31, first 2 shown]
	v_lshl_add_u64 v[6:7], v[6:7], 1, v[2:3]
	v_lshl_add_u64 v[8:9], v[8:9], 1, v[2:3]
	;; [unrolled: 1-line block ×31, first 2 shown]
	.loc	1 294 33 is_stmt 1              ; attention_aot.py:294:33
	v_cvt_f16_f32_e32 v80, v97
	v_cvt_f16_f32_e32 v81, v96
	.loc	1 294 26 is_stmt 0              ; attention_aot.py:294:26
	global_store_short v[4:5], v0, off
	global_store_short v[6:7], v1, off
	;; [unrolled: 1-line block ×32, first 2 shown]
.LBB0_142:                              ; %.critedge60
	.loc	1 294 4                         ; attention_aot.py:294:4
	s_endpgm
.Ltmp124:
	.section	.rodata,"a",@progbits
	.p2align	6, 0x0
	.amdhsa_kernel _attn_fwd
		.amdhsa_group_segment_fixed_size 0
		.amdhsa_private_segment_fixed_size 20
		.amdhsa_kernarg_size 176
		.amdhsa_user_sgpr_count 16
		.amdhsa_user_sgpr_dispatch_ptr 0
		.amdhsa_user_sgpr_queue_ptr 0
		.amdhsa_user_sgpr_kernarg_segment_ptr 1
		.amdhsa_user_sgpr_dispatch_id 0
		.amdhsa_user_sgpr_kernarg_preload_length 14
		.amdhsa_user_sgpr_kernarg_preload_offset 0
		.amdhsa_user_sgpr_private_segment_size 0
		.amdhsa_uses_dynamic_stack 0
		.amdhsa_enable_private_segment 1
		.amdhsa_system_sgpr_workgroup_id_x 1
		.amdhsa_system_sgpr_workgroup_id_y 1
		.amdhsa_system_sgpr_workgroup_id_z 0
		.amdhsa_system_sgpr_workgroup_info 0
		.amdhsa_system_vgpr_workitem_id 0
		.amdhsa_next_free_vgpr 256
		.amdhsa_next_free_sgpr 97
		.amdhsa_accum_offset 256
		.amdhsa_reserve_vcc 1
		.amdhsa_reserve_xnack_mask 1
		.amdhsa_float_round_mode_32 0
		.amdhsa_float_round_mode_16_64 0
		.amdhsa_float_denorm_mode_32 3
		.amdhsa_float_denorm_mode_16_64 3
		.amdhsa_dx10_clamp 1
		.amdhsa_ieee_mode 1
		.amdhsa_fp16_overflow 0
		.amdhsa_tg_split 0
		.amdhsa_exception_fp_ieee_invalid_op 0
		.amdhsa_exception_fp_denorm_src 0
		.amdhsa_exception_fp_ieee_div_zero 0
		.amdhsa_exception_fp_ieee_overflow 0
		.amdhsa_exception_fp_ieee_underflow 0
		.amdhsa_exception_fp_ieee_inexact 0
		.amdhsa_exception_int_div_zero 0
	.end_amdhsa_kernel
	.text
.Lfunc_end0:
	.size	_attn_fwd, .Lfunc_end0-_attn_fwd
	.cfi_endproc
                                        ; -- End function
	.set _attn_fwd.num_vgpr, 256
	.set _attn_fwd.num_agpr, 0
	.set _attn_fwd.numbered_sgpr, 97
	.set _attn_fwd.num_named_barrier, 0
	.set _attn_fwd.private_seg_size, 20
	.set _attn_fwd.uses_vcc, 1
	.set _attn_fwd.uses_flat_scratch, 0
	.set _attn_fwd.has_dyn_sized_stack, 0
	.set _attn_fwd.has_recursion, 0
	.set _attn_fwd.has_indirect_call, 0
	.section	.AMDGPU.csdata,"",@progbits
; Kernel info:
; codeLenInByte = 13832
; TotalNumSgprs: 103
; NumVgprs: 256
; NumAgprs: 0
; TotalNumVgprs: 256
; ScratchSize: 20
; MemoryBound: 0
; FloatMode: 240
; IeeeMode: 1
; LDSByteSize: 0 bytes/workgroup (compile time only)
; SGPRBlocks: 12
; VGPRBlocks: 31
; NumSGPRsForWavesPerEU: 103
; NumVGPRsForWavesPerEU: 256
; AccumOffset: 256
; Occupancy: 2
; WaveLimiterHint : 0
; COMPUTE_PGM_RSRC2:SCRATCH_EN: 1
; COMPUTE_PGM_RSRC2:USER_SGPR: 16
; COMPUTE_PGM_RSRC2:TRAP_HANDLER: 0
; COMPUTE_PGM_RSRC2:TGID_X_EN: 1
; COMPUTE_PGM_RSRC2:TGID_Y_EN: 1
; COMPUTE_PGM_RSRC2:TGID_Z_EN: 0
; COMPUTE_PGM_RSRC2:TIDIG_COMP_CNT: 0
; COMPUTE_PGM_RSRC3_GFX90A:ACCUM_OFFSET: 63
; COMPUTE_PGM_RSRC3_GFX90A:TG_SPLIT: 0
	.text
	.p2alignl 6, 3212836864
	.fill 256, 4, 3212836864
	.section	.AMDGPU.gpr_maximums,"",@progbits
	.set amdgpu.max_num_vgpr, 0
	.set amdgpu.max_num_agpr, 0
	.set amdgpu.max_num_sgpr, 0
	.set amdgpu.max_num_named_barrier, 0
	.text
	.section	.debug_abbrev,"",@progbits
	.byte	1                               ; Abbreviation Code
	.byte	17                              ; DW_TAG_compile_unit
	.byte	1                               ; DW_CHILDREN_yes
	.byte	37                              ; DW_AT_producer
	.byte	14                              ; DW_FORM_strp
	.byte	19                              ; DW_AT_language
	.byte	5                               ; DW_FORM_data2
	.byte	3                               ; DW_AT_name
	.byte	14                              ; DW_FORM_strp
	.byte	16                              ; DW_AT_stmt_list
	.byte	23                              ; DW_FORM_sec_offset
	.byte	27                              ; DW_AT_comp_dir
	.byte	14                              ; DW_FORM_strp
	.byte	17                              ; DW_AT_low_pc
	.byte	1                               ; DW_FORM_addr
	.byte	18                              ; DW_AT_high_pc
	.byte	6                               ; DW_FORM_data4
	.byte	0                               ; EOM(1)
	.byte	0                               ; EOM(2)
	.byte	2                               ; Abbreviation Code
	.byte	46                              ; DW_TAG_subprogram
	.byte	0                               ; DW_CHILDREN_no
	.byte	3                               ; DW_AT_name
	.byte	14                              ; DW_FORM_strp
	.byte	32                              ; DW_AT_inline
	.byte	11                              ; DW_FORM_data1
	.byte	0                               ; EOM(1)
	.byte	0                               ; EOM(2)
	.byte	3                               ; Abbreviation Code
	.byte	46                              ; DW_TAG_subprogram
	.byte	1                               ; DW_CHILDREN_yes
	.byte	17                              ; DW_AT_low_pc
	.byte	1                               ; DW_FORM_addr
	.byte	18                              ; DW_AT_high_pc
	.byte	6                               ; DW_FORM_data4
	.byte	49                              ; DW_AT_abstract_origin
	.byte	19                              ; DW_FORM_ref4
	.byte	0                               ; EOM(1)
	.byte	0                               ; EOM(2)
	.byte	4                               ; Abbreviation Code
	.byte	29                              ; DW_TAG_inlined_subroutine
	.byte	1                               ; DW_CHILDREN_yes
	.byte	49                              ; DW_AT_abstract_origin
	.byte	19                              ; DW_FORM_ref4
	.byte	85                              ; DW_AT_ranges
	.byte	23                              ; DW_FORM_sec_offset
	.byte	88                              ; DW_AT_call_file
	.byte	11                              ; DW_FORM_data1
	.byte	89                              ; DW_AT_call_line
	.byte	5                               ; DW_FORM_data2
	.byte	87                              ; DW_AT_call_column
	.byte	11                              ; DW_FORM_data1
	.byte	0                               ; EOM(1)
	.byte	0                               ; EOM(2)
	.byte	5                               ; Abbreviation Code
	.byte	29                              ; DW_TAG_inlined_subroutine
	.byte	1                               ; DW_CHILDREN_yes
	.byte	49                              ; DW_AT_abstract_origin
	.byte	19                              ; DW_FORM_ref4
	.byte	85                              ; DW_AT_ranges
	.byte	23                              ; DW_FORM_sec_offset
	.byte	88                              ; DW_AT_call_file
	.byte	11                              ; DW_FORM_data1
	.byte	89                              ; DW_AT_call_line
	.byte	11                              ; DW_FORM_data1
	.byte	87                              ; DW_AT_call_column
	.byte	11                              ; DW_FORM_data1
	.byte	0                               ; EOM(1)
	.byte	0                               ; EOM(2)
	.byte	6                               ; Abbreviation Code
	.byte	29                              ; DW_TAG_inlined_subroutine
	.byte	0                               ; DW_CHILDREN_no
	.byte	49                              ; DW_AT_abstract_origin
	.byte	19                              ; DW_FORM_ref4
	.byte	85                              ; DW_AT_ranges
	.byte	23                              ; DW_FORM_sec_offset
	.byte	88                              ; DW_AT_call_file
	.byte	11                              ; DW_FORM_data1
	.byte	89                              ; DW_AT_call_line
	.byte	11                              ; DW_FORM_data1
	.byte	87                              ; DW_AT_call_column
	.byte	11                              ; DW_FORM_data1
	.byte	0                               ; EOM(1)
	.byte	0                               ; EOM(2)
	.byte	7                               ; Abbreviation Code
	.byte	29                              ; DW_TAG_inlined_subroutine
	.byte	0                               ; DW_CHILDREN_no
	.byte	49                              ; DW_AT_abstract_origin
	.byte	19                              ; DW_FORM_ref4
	.byte	85                              ; DW_AT_ranges
	.byte	23                              ; DW_FORM_sec_offset
	.byte	88                              ; DW_AT_call_file
	.byte	11                              ; DW_FORM_data1
	.byte	89                              ; DW_AT_call_line
	.byte	5                               ; DW_FORM_data2
	.byte	87                              ; DW_AT_call_column
	.byte	11                              ; DW_FORM_data1
	.byte	0                               ; EOM(1)
	.byte	0                               ; EOM(2)
	;; [unrolled: 1-line block ×3, first 2 shown]
	.section	.debug_info,"",@progbits
.Lcu_begin0:
	.long	.Ldebug_info_end0-.Ldebug_info_start0 ; Length of Unit
.Ldebug_info_start0:
	.short	4                               ; DWARF version number
	.long	.debug_abbrev                   ; Offset Into Abbrev. Section
	.byte	8                               ; Address Size (in bytes)
	.byte	1                               ; Abbrev [1] 0xb:0x79 DW_TAG_compile_unit
	.long	.Linfo_string0                  ; DW_AT_producer
	.short	2                               ; DW_AT_language
	.long	.Linfo_string1                  ; DW_AT_name
	.long	.Lline_table_start0             ; DW_AT_stmt_list
	.long	.Linfo_string2                  ; DW_AT_comp_dir
	.quad	.Lfunc_begin0                   ; DW_AT_low_pc
	.long	.Lfunc_end0-.Lfunc_begin0       ; DW_AT_high_pc
	.byte	2                               ; Abbrev [2] 0x2a:0x6 DW_TAG_subprogram
	.long	.Linfo_string3                  ; DW_AT_name
	.byte	1                               ; DW_AT_inline
	.byte	3                               ; Abbrev [3] 0x30:0x53 DW_TAG_subprogram
	.quad	.Lfunc_begin0                   ; DW_AT_low_pc
	.long	.Lfunc_end0-.Lfunc_begin0       ; DW_AT_high_pc
	.long	42                              ; DW_AT_abstract_origin
	.byte	4                               ; Abbrev [4] 0x41:0x41 DW_TAG_inlined_subroutine
	.long	42                              ; DW_AT_abstract_origin
	.long	.Ldebug_ranges0                 ; DW_AT_ranges
	.byte	1                               ; DW_AT_call_file
	.short	258                             ; DW_AT_call_line
	.byte	12                              ; DW_AT_call_column
	.byte	5                               ; Abbrev [5] 0x4e:0x19 DW_TAG_inlined_subroutine
	.long	42                              ; DW_AT_abstract_origin
	.long	.Ldebug_ranges1                 ; DW_AT_ranges
	.byte	1                               ; DW_AT_call_file
	.byte	86                              ; DW_AT_call_line
	.byte	46                              ; DW_AT_call_column
	.byte	6                               ; Abbrev [6] 0x5a:0xc DW_TAG_inlined_subroutine
	.long	42                              ; DW_AT_abstract_origin
	.long	.Ldebug_ranges2                 ; DW_AT_ranges
	.byte	2                               ; DW_AT_call_file
	.byte	191                             ; DW_AT_call_line
	.byte	40                              ; DW_AT_call_column
	.byte	0                               ; End Of Children Mark
	.byte	5                               ; Abbrev [5] 0x67:0x1a DW_TAG_inlined_subroutine
	.long	42                              ; DW_AT_abstract_origin
	.long	.Ldebug_ranges3                 ; DW_AT_ranges
	.byte	1                               ; DW_AT_call_file
	.byte	90                              ; DW_AT_call_line
	.byte	25                              ; DW_AT_call_column
	.byte	7                               ; Abbrev [7] 0x73:0xd DW_TAG_inlined_subroutine
	.long	42                              ; DW_AT_abstract_origin
	.long	.Ldebug_ranges4                 ; DW_AT_ranges
	.byte	2                               ; DW_AT_call_file
	.short	293                             ; DW_AT_call_line
	.byte	36                              ; DW_AT_call_column
	.byte	0                               ; End Of Children Mark
	.byte	0                               ; End Of Children Mark
	;; [unrolled: 1-line block ×4, first 2 shown]
.Ldebug_info_end0:
	.section	.debug_ranges,"",@progbits
.Ldebug_ranges0:
	.quad	.Ltmp2-.Lfunc_begin0
	.quad	.Ltmp3-.Lfunc_begin0
	;; [unrolled: 1-line block ×34, first 2 shown]
	.quad	0
	.quad	0
.Ldebug_ranges1:
	.quad	.Ltmp35-.Lfunc_begin0
	.quad	.Ltmp36-.Lfunc_begin0
	;; [unrolled: 1-line block ×30, first 2 shown]
	.quad	0
	.quad	0
.Ldebug_ranges2:
	.quad	.Ltmp35-.Lfunc_begin0
	.quad	.Ltmp36-.Lfunc_begin0
	;; [unrolled: 1-line block ×30, first 2 shown]
	.quad	0
	.quad	0
.Ldebug_ranges3:
	.quad	.Ltmp66-.Lfunc_begin0
	.quad	.Ltmp67-.Lfunc_begin0
	;; [unrolled: 1-line block ×56, first 2 shown]
	.quad	0
	.quad	0
.Ldebug_ranges4:
	.quad	.Ltmp66-.Lfunc_begin0
	.quad	.Ltmp67-.Lfunc_begin0
	;; [unrolled: 1-line block ×56, first 2 shown]
	.quad	0
	.quad	0
	.section	.debug_str,"MS",@progbits,1
.Linfo_string0:
	.asciz	"triton"                        ; string offset=0
.Linfo_string1:
	.asciz	"attention_aot.py"              ; string offset=7
.Linfo_string2:
	.asciz	"/root/src/amdgpu-assembly/repos/FlagOpen__FlagGems/triton_aot_kernels" ; string offset=24
.Linfo_string3:
	.asciz	"_attn_fwd"                     ; string offset=94
	.section	".note.GNU-stack","",@progbits
	.amdgpu_metadata
---
amdhsa.kernels:
  - .agpr_count:     0
    .args:
      - .address_space:  global
        .offset:         0
        .size:           8
        .value_kind:     global_buffer
      - .address_space:  global
        .offset:         8
        .size:           8
        .value_kind:     global_buffer
      - .address_space:  global
        .offset:         16
        .size:           8
        .value_kind:     global_buffer
      - .address_space:  global
        .offset:         24
        .size:           8
        .value_kind:     global_buffer
      - .offset:         32
        .size:           4
        .value_kind:     by_value
      - .address_space:  global
        .offset:         40
        .size:           8
        .value_kind:     global_buffer
      - .address_space:  global
        .offset:         48
        .size:           8
        .value_kind:     global_buffer
      - .offset:         56
        .size:           4
        .value_kind:     by_value
      - .offset:         60
        .size:           4
        .value_kind:     by_value
      - .offset:         64
        .size:           4
        .value_kind:     by_value
      - .offset:         68
        .size:           4
        .value_kind:     by_value
      - .offset:         72
        .size:           4
        .value_kind:     by_value
      - .offset:         76
        .size:           4
        .value_kind:     by_value
      - .offset:         80
        .size:           4
        .value_kind:     by_value
      - .offset:         84
        .size:           4
        .value_kind:     by_value
      - .offset:         88
        .size:           4
        .value_kind:     by_value
      - .offset:         92
        .size:           4
        .value_kind:     by_value
      - .offset:         96
        .size:           4
        .value_kind:     by_value
      - .offset:         100
        .size:           4
        .value_kind:     by_value
      - .offset:         104
        .size:           4
        .value_kind:     by_value
      - .offset:         108
        .size:           4
        .value_kind:     by_value
      - .offset:         112
        .size:           4
        .value_kind:     by_value
      - .offset:         116
        .size:           4
        .value_kind:     by_value
      - .offset:         120
        .size:           4
        .value_kind:     by_value
      - .offset:         124
        .size:           4
        .value_kind:     by_value
      - .offset:         128
        .size:           4
        .value_kind:     by_value
      - .offset:         132
        .size:           4
        .value_kind:     by_value
      - .offset:         136
        .size:           4
        .value_kind:     by_value
      - .offset:         140
        .size:           4
        .value_kind:     by_value
      - .offset:         144
        .size:           4
        .value_kind:     by_value
      - .offset:         148
        .size:           4
        .value_kind:     by_value
      - .offset:         152
        .size:           4
        .value_kind:     by_value
      - .address_space:  global
        .offset:         160
        .size:           8
        .value_kind:     global_buffer
      - .address_space:  global
        .offset:         168
        .size:           8
        .value_kind:     global_buffer
    .group_segment_fixed_size: 0
    .kernarg_segment_align: 8
    .kernarg_segment_size: 176
    .max_flat_workgroup_size: 512
    .name:           _attn_fwd
    .private_segment_fixed_size: 20
    .sgpr_count:     103
    .sgpr_spill_count: 0
    .symbol:         _attn_fwd.kd
    .uniform_work_group_size: 1
    .uses_dynamic_stack: false
    .vgpr_count:     256
    .vgpr_spill_count: 4
    .wavefront_size: 64
amdhsa.target:   amdgcn-amd-amdhsa--gfx942
amdhsa.version:
  - 1
  - 2
...

	.end_amdgpu_metadata
	.section	.debug_line,"",@progbits
.Lline_table_start0:
